;; amdgpu-corpus repo=ROCm/rocFFT kind=compiled arch=gfx950 opt=O3
	.text
	.amdgcn_target "amdgcn-amd-amdhsa--gfx950"
	.amdhsa_code_object_version 6
	.protected	fft_rtc_fwd_len2160_factors_10_6_6_6_wgs_60_tpt_60_halfLds_sp_ip_CI_unitstride_sbrr_R2C_dirReg ; -- Begin function fft_rtc_fwd_len2160_factors_10_6_6_6_wgs_60_tpt_60_halfLds_sp_ip_CI_unitstride_sbrr_R2C_dirReg
	.globl	fft_rtc_fwd_len2160_factors_10_6_6_6_wgs_60_tpt_60_halfLds_sp_ip_CI_unitstride_sbrr_R2C_dirReg
	.p2align	8
	.type	fft_rtc_fwd_len2160_factors_10_6_6_6_wgs_60_tpt_60_halfLds_sp_ip_CI_unitstride_sbrr_R2C_dirReg,@function
fft_rtc_fwd_len2160_factors_10_6_6_6_wgs_60_tpt_60_halfLds_sp_ip_CI_unitstride_sbrr_R2C_dirReg: ; @fft_rtc_fwd_len2160_factors_10_6_6_6_wgs_60_tpt_60_halfLds_sp_ip_CI_unitstride_sbrr_R2C_dirReg
; %bb.0:
	s_load_dwordx2 s[8:9], s[0:1], 0x50
	s_load_dwordx4 s[4:7], s[0:1], 0x0
	s_load_dwordx2 s[10:11], s[0:1], 0x18
	v_mul_u32_u24_e32 v1, 0x445, v0
	v_add_u32_sdwa v6, s2, v1 dst_sel:DWORD dst_unused:UNUSED_PAD src0_sel:DWORD src1_sel:WORD_1
	v_mov_b32_e32 v4, 0
	s_waitcnt lgkmcnt(0)
	v_cmp_lt_u64_e64 s[2:3], s[6:7], 2
	v_mov_b32_e32 v7, v4
	s_and_b64 vcc, exec, s[2:3]
	v_mov_b64_e32 v[2:3], 0
	s_cbranch_vccnz .LBB0_8
; %bb.1:
	s_load_dwordx2 s[2:3], s[0:1], 0x10
	s_add_u32 s12, s10, 8
	s_addc_u32 s13, s11, 0
	s_mov_b64 s[14:15], 1
	v_mov_b64_e32 v[2:3], 0
	s_waitcnt lgkmcnt(0)
	s_add_u32 s16, s2, 8
	s_addc_u32 s17, s3, 0
.LBB0_2:                                ; =>This Inner Loop Header: Depth=1
	s_load_dwordx2 s[18:19], s[16:17], 0x0
                                        ; implicit-def: $vgpr8_vgpr9
	s_waitcnt lgkmcnt(0)
	v_or_b32_e32 v5, s19, v7
	v_cmp_ne_u64_e32 vcc, 0, v[4:5]
	s_and_saveexec_b64 s[2:3], vcc
	s_xor_b64 s[20:21], exec, s[2:3]
	s_cbranch_execz .LBB0_4
; %bb.3:                                ;   in Loop: Header=BB0_2 Depth=1
	v_cvt_f32_u32_e32 v1, s18
	v_cvt_f32_u32_e32 v5, s19
	s_sub_u32 s2, 0, s18
	s_subb_u32 s3, 0, s19
	v_fmac_f32_e32 v1, 0x4f800000, v5
	v_rcp_f32_e32 v1, v1
	s_nop 0
	v_mul_f32_e32 v1, 0x5f7ffffc, v1
	v_mul_f32_e32 v5, 0x2f800000, v1
	v_trunc_f32_e32 v5, v5
	v_fmac_f32_e32 v1, 0xcf800000, v5
	v_cvt_u32_f32_e32 v5, v5
	v_cvt_u32_f32_e32 v1, v1
	v_mul_lo_u32 v8, s2, v5
	v_mul_hi_u32 v10, s2, v1
	v_mul_lo_u32 v9, s3, v1
	v_add_u32_e32 v10, v10, v8
	v_mul_lo_u32 v12, s2, v1
	v_add_u32_e32 v13, v10, v9
	v_mul_hi_u32 v8, v1, v12
	v_mul_hi_u32 v11, v1, v13
	v_mul_lo_u32 v10, v1, v13
	v_mov_b32_e32 v9, v4
	v_lshl_add_u64 v[8:9], v[8:9], 0, v[10:11]
	v_mul_hi_u32 v11, v5, v12
	v_mul_lo_u32 v12, v5, v12
	v_add_co_u32_e32 v8, vcc, v8, v12
	v_mul_hi_u32 v10, v5, v13
	s_nop 0
	v_addc_co_u32_e32 v8, vcc, v9, v11, vcc
	v_mov_b32_e32 v9, v4
	s_nop 0
	v_addc_co_u32_e32 v11, vcc, 0, v10, vcc
	v_mul_lo_u32 v10, v5, v13
	v_lshl_add_u64 v[8:9], v[8:9], 0, v[10:11]
	v_add_co_u32_e32 v1, vcc, v1, v8
	v_mul_lo_u32 v10, s2, v1
	s_nop 0
	v_addc_co_u32_e32 v5, vcc, v5, v9, vcc
	v_mul_lo_u32 v8, s2, v5
	v_mul_hi_u32 v9, s2, v1
	v_add_u32_e32 v8, v9, v8
	v_mul_lo_u32 v9, s3, v1
	v_add_u32_e32 v12, v8, v9
	v_mul_hi_u32 v14, v5, v10
	v_mul_lo_u32 v15, v5, v10
	v_mul_hi_u32 v9, v1, v12
	v_mul_lo_u32 v8, v1, v12
	v_mul_hi_u32 v10, v1, v10
	v_mov_b32_e32 v11, v4
	v_lshl_add_u64 v[8:9], v[10:11], 0, v[8:9]
	v_add_co_u32_e32 v8, vcc, v8, v15
	v_mul_hi_u32 v13, v5, v12
	s_nop 0
	v_addc_co_u32_e32 v8, vcc, v9, v14, vcc
	v_mul_lo_u32 v10, v5, v12
	s_nop 0
	v_addc_co_u32_e32 v11, vcc, 0, v13, vcc
	v_mov_b32_e32 v9, v4
	v_lshl_add_u64 v[8:9], v[8:9], 0, v[10:11]
	v_add_co_u32_e32 v1, vcc, v1, v8
	v_mul_hi_u32 v10, v6, v1
	s_nop 0
	v_addc_co_u32_e32 v5, vcc, v5, v9, vcc
	v_mad_u64_u32 v[8:9], s[2:3], v6, v5, 0
	v_mov_b32_e32 v11, v4
	v_lshl_add_u64 v[8:9], v[10:11], 0, v[8:9]
	v_mad_u64_u32 v[12:13], s[2:3], v7, v1, 0
	v_add_co_u32_e32 v1, vcc, v8, v12
	v_mad_u64_u32 v[10:11], s[2:3], v7, v5, 0
	s_nop 0
	v_addc_co_u32_e32 v8, vcc, v9, v13, vcc
	v_mov_b32_e32 v9, v4
	s_nop 0
	v_addc_co_u32_e32 v11, vcc, 0, v11, vcc
	v_lshl_add_u64 v[8:9], v[8:9], 0, v[10:11]
	v_mul_lo_u32 v1, s19, v8
	v_mul_lo_u32 v5, s18, v9
	v_mad_u64_u32 v[10:11], s[2:3], s18, v8, 0
	v_add3_u32 v1, v11, v5, v1
	v_sub_u32_e32 v5, v7, v1
	v_mov_b32_e32 v11, s19
	v_sub_co_u32_e32 v14, vcc, v6, v10
	v_lshl_add_u64 v[12:13], v[8:9], 0, 1
	s_nop 0
	v_subb_co_u32_e64 v5, s[2:3], v5, v11, vcc
	v_subrev_co_u32_e64 v10, s[2:3], s18, v14
	v_subb_co_u32_e32 v1, vcc, v7, v1, vcc
	s_nop 0
	v_subbrev_co_u32_e64 v5, s[2:3], 0, v5, s[2:3]
	v_cmp_le_u32_e64 s[2:3], s19, v5
	v_cmp_le_u32_e32 vcc, s19, v1
	s_nop 0
	v_cndmask_b32_e64 v11, 0, -1, s[2:3]
	v_cmp_le_u32_e64 s[2:3], s18, v10
	s_nop 1
	v_cndmask_b32_e64 v10, 0, -1, s[2:3]
	v_cmp_eq_u32_e64 s[2:3], s19, v5
	s_nop 1
	v_cndmask_b32_e64 v5, v11, v10, s[2:3]
	v_lshl_add_u64 v[10:11], v[8:9], 0, 2
	v_cmp_ne_u32_e64 s[2:3], 0, v5
	s_nop 1
	v_cndmask_b32_e64 v5, v13, v11, s[2:3]
	v_cndmask_b32_e64 v11, 0, -1, vcc
	v_cmp_le_u32_e32 vcc, s18, v14
	s_nop 1
	v_cndmask_b32_e64 v13, 0, -1, vcc
	v_cmp_eq_u32_e32 vcc, s19, v1
	s_nop 1
	v_cndmask_b32_e32 v1, v11, v13, vcc
	v_cmp_ne_u32_e32 vcc, 0, v1
	v_cndmask_b32_e64 v1, v12, v10, s[2:3]
	s_nop 0
	v_cndmask_b32_e32 v9, v9, v5, vcc
	v_cndmask_b32_e32 v8, v8, v1, vcc
.LBB0_4:                                ;   in Loop: Header=BB0_2 Depth=1
	s_andn2_saveexec_b64 s[2:3], s[20:21]
	s_cbranch_execz .LBB0_6
; %bb.5:                                ;   in Loop: Header=BB0_2 Depth=1
	v_cvt_f32_u32_e32 v1, s18
	s_sub_i32 s20, 0, s18
	v_rcp_iflag_f32_e32 v1, v1
	s_nop 0
	v_mul_f32_e32 v1, 0x4f7ffffe, v1
	v_cvt_u32_f32_e32 v1, v1
	v_mul_lo_u32 v5, s20, v1
	v_mul_hi_u32 v5, v1, v5
	v_add_u32_e32 v1, v1, v5
	v_mul_hi_u32 v1, v6, v1
	v_mul_lo_u32 v5, v1, s18
	v_sub_u32_e32 v5, v6, v5
	v_add_u32_e32 v8, 1, v1
	v_subrev_u32_e32 v9, s18, v5
	v_cmp_le_u32_e32 vcc, s18, v5
	s_nop 1
	v_cndmask_b32_e32 v5, v5, v9, vcc
	v_cndmask_b32_e32 v1, v1, v8, vcc
	v_add_u32_e32 v8, 1, v1
	v_cmp_le_u32_e32 vcc, s18, v5
	v_mov_b32_e32 v9, v4
	s_nop 0
	v_cndmask_b32_e32 v8, v1, v8, vcc
.LBB0_6:                                ;   in Loop: Header=BB0_2 Depth=1
	s_or_b64 exec, exec, s[2:3]
	v_mad_u64_u32 v[10:11], s[2:3], v8, s18, 0
	s_load_dwordx2 s[2:3], s[12:13], 0x0
	v_mul_lo_u32 v1, v9, s18
	v_mul_lo_u32 v5, v8, s19
	v_add3_u32 v1, v11, v5, v1
	v_sub_co_u32_e32 v5, vcc, v6, v10
	s_add_u32 s14, s14, 1
	s_nop 0
	v_subb_co_u32_e32 v1, vcc, v7, v1, vcc
	s_addc_u32 s15, s15, 0
	s_waitcnt lgkmcnt(0)
	v_mul_lo_u32 v1, s2, v1
	v_mul_lo_u32 v6, s3, v5
	v_mad_u64_u32 v[2:3], s[2:3], s2, v5, v[2:3]
	s_add_u32 s12, s12, 8
	v_add3_u32 v3, v6, v3, v1
	s_addc_u32 s13, s13, 0
	v_mov_b64_e32 v[6:7], s[6:7]
	s_add_u32 s16, s16, 8
	v_cmp_ge_u64_e32 vcc, s[14:15], v[6:7]
	s_addc_u32 s17, s17, 0
	s_cbranch_vccnz .LBB0_9
; %bb.7:                                ;   in Loop: Header=BB0_2 Depth=1
	v_mov_b64_e32 v[6:7], v[8:9]
	s_branch .LBB0_2
.LBB0_8:
	v_mov_b64_e32 v[8:9], v[6:7]
.LBB0_9:
	s_lshl_b64 s[2:3], s[6:7], 3
	s_add_u32 s2, s10, s2
	s_addc_u32 s3, s11, s3
	s_load_dwordx2 s[6:7], s[2:3], 0x0
	s_load_dwordx2 s[10:11], s[0:1], 0x20
	s_mov_b32 s2, 0x4444445
                                        ; implicit-def: $vgpr88
                                        ; implicit-def: $vgpr86
	s_waitcnt lgkmcnt(0)
	v_mul_lo_u32 v1, s6, v9
	v_mul_lo_u32 v4, s7, v8
	v_mad_u64_u32 v[2:3], s[0:1], s6, v8, v[2:3]
	v_add3_u32 v3, v4, v3, v1
	v_mul_hi_u32 v1, v0, s2
	v_mul_u32_u24_e32 v1, 60, v1
	v_sub_u32_e32 v80, v0, v1
	v_cmp_gt_u64_e64 s[0:1], s[10:11], v[8:9]
	v_cmp_le_u64_e32 vcc, s[10:11], v[8:9]
	v_add_u32_e32 v82, 60, v80
	s_and_saveexec_b64 s[2:3], vcc
	s_xor_b64 s[2:3], exec, s[2:3]
; %bb.10:
	v_add_u32_e32 v82, 60, v80
	v_add_u32_e32 v88, 0x78, v80
	;; [unrolled: 1-line block ×3, first 2 shown]
; %bb.11:
	s_or_saveexec_b64 s[2:3], s[2:3]
	v_lshl_add_u64 v[84:85], v[2:3], 3, s[8:9]
	v_lshl_add_u32 v90, v80, 3, 0
	s_xor_b64 exec, exec, s[2:3]
	s_cbranch_execz .LBB0_13
; %bb.12:
	v_mov_b32_e32 v81, 0
	v_lshl_add_u64 v[0:1], v[80:81], 3, v[84:85]
	s_movk_i32 s6, 0x1000
	v_add_co_u32_e32 v18, vcc, s6, v0
	s_movk_i32 s6, 0x2000
	s_nop 0
	v_addc_co_u32_e32 v19, vcc, 0, v1, vcc
	v_add_co_u32_e32 v24, vcc, s6, v0
	global_load_dwordx2 v[2:3], v[0:1], off
	global_load_dwordx2 v[4:5], v[0:1], off offset:480
	global_load_dwordx2 v[6:7], v[0:1], off offset:960
	;; [unrolled: 1-line block ×7, first 2 shown]
	s_movk_i32 s7, 0x3000
	v_addc_co_u32_e32 v25, vcc, 0, v1, vcc
	v_or_b32_e32 v20, 0x3c0, v80
	v_mov_b32_e32 v21, v81
	v_add_co_u32_e32 v26, vcc, s7, v0
	v_or_b32_e32 v22, 0x780, v80
	v_mov_b32_e32 v23, v81
	v_lshl_add_u64 v[20:21], v[20:21], 3, v[84:85]
	v_addc_co_u32_e32 v27, vcc, 0, v1, vcc
	v_lshl_add_u64 v[22:23], v[22:23], 3, v[84:85]
	v_add_co_u32_e32 v28, vcc, 0x4000, v0
	global_load_dwordx2 v[30:31], v[0:1], off offset:3840
	global_load_dwordx2 v[32:33], v[18:19], off offset:224
	;; [unrolled: 1-line block ×10, first 2 shown]
	global_load_dwordx2 v[50:51], v[20:21], off
	global_load_dwordx2 v[52:53], v[18:19], off offset:4064
	global_load_dwordx2 v[54:55], v[24:25], off offset:1408
	;; [unrolled: 1-line block ×4, first 2 shown]
                                        ; kill: killed $vgpr20_vgpr21
                                        ; kill: killed $vgpr18 killed $vgpr19
                                        ; kill: killed $vgpr0
	s_nop 0
	global_load_dwordx2 v[18:19], v[24:25], off offset:2848
	global_load_dwordx2 v[20:21], v[24:25], off offset:3328
	;; [unrolled: 1-line block ×10, first 2 shown]
	v_addc_co_u32_e32 v29, vcc, 0, v1, vcc
	global_load_dwordx2 v[0:1], v[22:23], off
	global_load_dwordx2 v[24:25], v[28:29], off offset:416
	global_load_dwordx2 v[76:77], v[26:27], off offset:4032
	v_add_u32_e32 v22, 0x400, v90
	v_add_u32_e32 v23, 0x800, v90
	v_add_u32_e32 v26, 0xc00, v90
	v_add_u32_e32 v27, 0x1000, v90
	v_add_u32_e32 v28, 0x1400, v90
	v_add_u32_e32 v29, 0x1800, v90
	v_add_u32_e32 v78, 0x2000, v90
	v_add_u32_e32 v88, 0x78, v80
	v_add_u32_e32 v86, 0xb4, v80
	s_waitcnt vmcnt(34)
	ds_write2_b64 v90, v[2:3], v[4:5] offset1:60
	s_waitcnt vmcnt(32)
	ds_write2_b64 v90, v[6:7], v[8:9] offset0:120 offset1:180
	s_waitcnt vmcnt(30)
	ds_write2_b64 v22, v[10:11], v[12:13] offset0:112 offset1:172
	s_waitcnt vmcnt(28)
	ds_write2_b64 v23, v[14:15], v[16:17] offset0:104 offset1:164
	s_waitcnt vmcnt(26)
	ds_write2_b64 v26, v[30:31], v[32:33] offset0:96 offset1:156
	s_waitcnt vmcnt(24)
	ds_write2_b64 v27, v[34:35], v[36:37] offset0:88 offset1:148
	s_waitcnt vmcnt(22)
	ds_write2_b64 v28, v[38:39], v[40:41] offset0:80 offset1:140
	s_waitcnt vmcnt(20)
	ds_write2_b64 v29, v[42:43], v[44:45] offset0:72 offset1:132
	s_waitcnt vmcnt(16)
	ds_write2_b64 v29, v[50:51], v[52:53] offset0:192 offset1:252
	ds_write2_b64 v78, v[48:49], v[46:47] offset0:56 offset1:116
	s_waitcnt vmcnt(14)
	ds_write2_b64 v78, v[54:55], v[56:57] offset0:176 offset1:236
	v_add_u32_e32 v2, 0x2800, v90
	s_waitcnt vmcnt(12)
	ds_write2_b64 v2, v[58:59], v[18:19] offset0:40 offset1:100
	s_waitcnt vmcnt(10)
	ds_write2_b64 v2, v[20:21], v[60:61] offset0:160 offset1:220
	v_add_u32_e32 v2, 0x3000, v90
	s_waitcnt vmcnt(8)
	;; [unrolled: 5-line block ×4, first 2 shown]
	ds_write2_b64 v0, v[76:77], v[24:25] offset0:120 offset1:180
.LBB0_13:
	s_or_b64 exec, exec, s[2:3]
	v_add_u32_e32 v91, 0x400, v90
	s_waitcnt lgkmcnt(0)
	; wave barrier
	s_waitcnt lgkmcnt(0)
	v_add_u32_e32 v93, 0x800, v90
	v_add_u32_e32 v81, 0x1000, v90
	;; [unrolled: 1-line block ×5, first 2 shown]
	ds_read2_b64 v[40:43], v91 offset0:88 offset1:148
	ds_read2_b64 v[60:63], v93 offset0:176 offset1:236
	;; [unrolled: 1-line block ×6, first 2 shown]
	v_add_u32_e32 v95, 0x2c00, v90
	v_add_u32_e32 v87, 0x3000, v90
	;; [unrolled: 1-line block ×3, first 2 shown]
	ds_read2_b64 v[48:51], v95 offset0:104 offset1:164
	ds_read2_b64 v[68:71], v87 offset0:192 offset1:252
	;; [unrolled: 1-line block ×3, first 2 shown]
	s_mov_b32 s2, 0xbf737871
	s_waitcnt lgkmcnt(5)
	v_pk_add_f32 v[0:1], v[72:73], v[60:61] neg_lo:[0,1] neg_hi:[0,1]
	s_mov_b32 s3, 0x3f737871
	s_waitcnt lgkmcnt(1)
	v_pk_add_f32 v[2:3], v[64:65], v[68:69] neg_lo:[0,1] neg_hi:[0,1]
	s_waitcnt lgkmcnt(0)
	v_pk_add_f32 v[4:5], v[48:49], v[56:57] neg_lo:[0,1] neg_hi:[0,1]
	v_pk_add_f32 v[0:1], v[0:1], v[2:3]
	v_pk_add_f32 v[2:3], v[44:45], v[52:53] neg_lo:[0,1] neg_hi:[0,1]
	s_mov_b32 s6, 0xbf167918
	s_mov_b32 s14, s3
	v_pk_add_f32 v[98:99], v[44:45], v[48:49] neg_lo:[0,1] neg_hi:[0,1]
	v_pk_add_f32 v[2:3], v[2:3], v[4:5]
	v_pk_add_f32 v[4:5], v[52:53], v[56:57]
	s_mov_b32 s7, 0x3f167918
	v_pk_fma_f32 v[4:5], v[4:5], 0.5, v[40:41] op_sel_hi:[1,0,1] neg_lo:[1,0,0] neg_hi:[1,0,0]
	v_pk_mul_f32 v[6:7], v[98:99], s[14:15] op_sel_hi:[1,0]
	s_mov_b32 s16, s7
	v_pk_add_f32 v[100:101], v[52:53], v[56:57] neg_lo:[0,1] neg_hi:[0,1]
	v_pk_add_f32 v[8:9], v[4:5], v[6:7] op_sel:[0,1] op_sel_hi:[1,0] neg_lo:[0,1] neg_hi:[0,1]
	v_pk_add_f32 v[4:5], v[4:5], v[6:7] op_sel:[0,1] op_sel_hi:[1,0]
	v_pk_mul_f32 v[6:7], v[100:101], s[16:17] op_sel_hi:[1,0]
	s_mov_b32 s8, 0x3e9e377a
	v_pk_add_f32 v[4:5], v[4:5], v[6:7] op_sel:[0,1] op_sel_hi:[1,0] neg_lo:[0,1] neg_hi:[0,1]
	v_pk_add_f32 v[6:7], v[8:9], v[6:7] op_sel:[0,1] op_sel_hi:[1,0]
	v_mov_b32_e32 v9, v5
	v_mov_b32_e32 v8, v6
	ds_read2_b64 v[76:79], v90 offset1:60
	v_pk_fma_f32 v[8:9], v[2:3], s[8:9], v[8:9] op_sel_hi:[1,0,1]
	v_pk_add_f32 v[104:105], v[72:73], v[64:65] neg_lo:[0,1] neg_hi:[0,1]
	v_pk_mul_f32 v[10:11], v[8:9], s[14:15] op_sel_hi:[1,0]
	v_pk_add_f32 v[106:107], v[60:61], v[68:69] neg_lo:[0,1] neg_hi:[0,1]
	v_pk_fma_f32 v[102:103], v[8:9], s[8:9], v[10:11] op_sel:[0,0,1] op_sel_hi:[1,0,0]
	v_pk_fma_f32 v[8:9], v[8:9], s[8:9], v[10:11] op_sel:[0,0,1] op_sel_hi:[1,0,0] neg_lo:[0,0,1] neg_hi:[0,0,1]
	v_pk_mul_f32 v[10:11], v[104:105], s[14:15] op_sel_hi:[1,0]
	v_mov_b32_e32 v103, v9
	v_pk_add_f32 v[8:9], v[60:61], v[68:69]
	v_mov_b32_e32 v5, v7
	s_waitcnt lgkmcnt(0)
	v_pk_fma_f32 v[8:9], v[8:9], 0.5, v[76:77] op_sel_hi:[1,0,1] neg_lo:[1,0,0] neg_hi:[1,0,0]
	v_pk_fma_f32 v[2:3], v[2:3], s[8:9], v[4:5] op_sel_hi:[1,0,1]
	v_pk_add_f32 v[12:13], v[8:9], v[10:11] op_sel:[0,1] op_sel_hi:[1,0] neg_lo:[0,1] neg_hi:[0,1]
	v_pk_add_f32 v[8:9], v[8:9], v[10:11] op_sel:[0,1] op_sel_hi:[1,0]
	v_pk_mul_f32 v[10:11], v[106:107], s[16:17] op_sel_hi:[1,0]
	v_pk_mul_f32 v[4:5], v[2:3], s[8:9] op_sel_hi:[1,0]
	v_pk_add_f32 v[8:9], v[8:9], v[10:11] op_sel:[0,1] op_sel_hi:[1,0] neg_lo:[0,1] neg_hi:[0,1]
	v_pk_add_f32 v[10:11], v[12:13], v[10:11] op_sel:[0,1] op_sel_hi:[1,0]
	v_pk_fma_f32 v[108:109], v[2:3], s[2:3], v[4:5] op_sel:[0,0,1] op_sel_hi:[1,1,0] neg_lo:[0,0,1] neg_hi:[0,0,1]
	v_mov_b32_e32 v2, v10
	v_mov_b32_e32 v3, v9
	;; [unrolled: 1-line block ×3, first 2 shown]
	v_pk_fma_f32 v[110:111], v[0:1], s[8:9], v[2:3] op_sel_hi:[1,0,1]
	v_pk_fma_f32 v[112:113], v[0:1], s[8:9], v[8:9] op_sel_hi:[1,0,1]
	s_movk_i32 s9, 0x48
	v_add_u32_e32 v0, 0x4000, v90
	v_mad_u32_u24 v97, v80, s9, v90
	v_pk_add_f32 v[114:115], v[110:111], v[102:103]
	v_pk_add_f32 v[116:117], v[112:113], v[108:109] op_sel:[0,1] op_sel_hi:[1,0]
	v_add_u32_e32 v96, 0x1c00, v90
	ds_read2_b64 v[4:7], v0 offset0:16 offset1:76
	ds_read2_b64 v[20:23], v90 offset0:120 offset1:180
	;; [unrolled: 1-line block ×4, first 2 shown]
	ds_read2_b64 v[12:15], v83 offset1:60
	ds_read2_b64 v[28:31], v96 offset0:88 offset1:148
	ds_read2_b64 v[8:11], v94 offset0:176 offset1:236
	;; [unrolled: 1-line block ×5, first 2 shown]
	s_waitcnt lgkmcnt(0)
	; wave barrier
	s_waitcnt lgkmcnt(0)
	ds_write2_b64 v97, v[114:115], v[116:117] offset0:2 offset1:3
	v_pk_add_f32 v[114:115], v[60:61], v[72:73] neg_lo:[0,1] neg_hi:[0,1]
	v_pk_add_f32 v[116:117], v[68:69], v[64:65] neg_lo:[0,1] neg_hi:[0,1]
	v_pk_mul_f32 v[106:107], v[106:107], s[14:15] op_sel_hi:[1,0]
	v_pk_add_f32 v[114:115], v[114:115], v[116:117]
	v_pk_add_f32 v[116:117], v[72:73], v[64:65]
	v_pk_mul_f32 v[104:105], v[104:105], s[16:17] op_sel_hi:[1,0]
	v_pk_fma_f32 v[116:117], v[116:117], 0.5, v[76:77] op_sel_hi:[1,0,1] neg_lo:[1,0,0] neg_hi:[1,0,0]
	v_pk_mul_f32 v[100:101], v[100:101], s[14:15] op_sel_hi:[1,0]
	v_pk_add_f32 v[118:119], v[116:117], v[106:107] op_sel:[0,1] op_sel_hi:[1,0]
	v_pk_add_f32 v[106:107], v[116:117], v[106:107] op_sel:[0,1] op_sel_hi:[1,0] neg_lo:[0,1] neg_hi:[0,1]
	v_pk_add_f32 v[116:117], v[52:53], v[44:45] neg_lo:[0,1] neg_hi:[0,1]
	v_pk_add_f32 v[106:107], v[106:107], v[104:105] op_sel:[0,1] op_sel_hi:[1,0] neg_lo:[0,1] neg_hi:[0,1]
	v_pk_add_f32 v[104:105], v[118:119], v[104:105] op_sel:[0,1] op_sel_hi:[1,0]
	v_pk_add_f32 v[118:119], v[56:57], v[48:49] neg_lo:[0,1] neg_hi:[0,1]
	v_pk_mul_f32 v[98:99], v[98:99], s[16:17] op_sel_hi:[1,0]
	v_pk_add_f32 v[116:117], v[116:117], v[118:119]
	v_pk_add_f32 v[118:119], v[44:45], v[48:49]
	s_mov_b32 s10, 0x3f4f1bbd
	v_pk_fma_f32 v[118:119], v[118:119], 0.5, v[40:41] op_sel_hi:[1,0,1] neg_lo:[1,0,0] neg_hi:[1,0,0]
	v_pk_add_f32 v[60:61], v[76:77], v[60:61]
	v_pk_add_f32 v[120:121], v[118:119], v[100:101] op_sel:[0,1] op_sel_hi:[1,0]
	v_pk_add_f32 v[100:101], v[118:119], v[100:101] op_sel:[0,1] op_sel_hi:[1,0] neg_lo:[0,1] neg_hi:[0,1]
	v_pk_add_f32 v[118:119], v[98:99], v[120:121] op_sel:[1,0] op_sel_hi:[0,1]
	v_pk_add_f32 v[98:99], v[100:101], v[98:99] op_sel:[0,1] op_sel_hi:[1,0] neg_lo:[0,1] neg_hi:[0,1]
	v_pk_add_f32 v[40:41], v[40:41], v[52:53]
	v_pk_fma_f32 v[100:101], v[116:117], s[8:9], v[98:99] op_sel_hi:[1,0,1]
	v_mov_b32_e32 v99, v119
	v_pk_fma_f32 v[98:99], v[116:117], s[8:9], v[98:99] op_sel_hi:[1,0,1]
	v_pk_fma_f32 v[118:119], v[116:117], s[8:9], v[118:119] op_sel_hi:[1,0,1]
	v_pk_mul_f32 v[116:117], v[98:99], s[10:11] op_sel_hi:[1,0]
	s_mov_b32 s11, s7
	v_pk_mul_f32 v[118:119], v[118:119], s[10:11] op_sel_hi:[0,1]
	s_mov_b32 s12, s7
	s_mov_b32 s13, s10
	v_pk_add_f32 v[60:61], v[60:61], v[72:73]
	v_pk_add_f32 v[40:41], v[40:41], v[44:45]
	v_pk_fma_f32 v[120:121], v[100:101], s[12:13], v[118:119] op_sel:[1,0,0]
	v_pk_fma_f32 v[100:101], v[100:101], s[12:13], v[118:119] op_sel:[1,0,0] neg_lo:[0,0,1] neg_hi:[0,0,1]
	v_pk_add_f32 v[60:61], v[60:61], v[64:65]
	v_pk_add_f32 v[40:41], v[40:41], v[48:49]
	v_mov_b32_e32 v44, v104
	v_mov_b32_e32 v45, v107
	;; [unrolled: 1-line block ×3, first 2 shown]
	v_pk_add_f32 v[60:61], v[60:61], v[68:69]
	v_pk_add_f32 v[40:41], v[40:41], v[56:57]
	v_pk_fma_f32 v[44:45], v[114:115], s[8:9], v[44:45] op_sel_hi:[1,0,1]
	v_pk_add_f32 v[48:49], v[60:61], v[40:41]
	v_pk_add_f32 v[52:53], v[44:45], v[120:121]
	v_mov_b32_e32 v107, v105
	ds_write2_b64 v97, v[48:49], v[52:53] offset1:1
	v_pk_fma_f32 v[48:49], v[114:115], s[8:9], v[106:107] op_sel_hi:[1,0,1]
	v_pk_fma_f32 v[52:53], v[98:99], s[6:7], v[116:117] op_sel:[0,0,1] op_sel_hi:[1,1,0] neg_lo:[0,0,1] neg_hi:[0,0,1]
	v_pk_add_f32 v[40:41], v[60:61], v[40:41] neg_lo:[0,1] neg_hi:[0,1]
	v_pk_add_f32 v[56:57], v[48:49], v[52:53] op_sel:[1,0] op_sel_hi:[0,1]
	v_mov_b32_e32 v60, v57
	v_mov_b32_e32 v61, v56
	ds_write2_b64 v97, v[60:61], v[40:41] offset0:4 offset1:5
	v_pk_add_f32 v[40:41], v[44:45], v[120:121] neg_lo:[0,1] neg_hi:[0,1]
	v_pk_add_f32 v[44:45], v[110:111], v[102:103] neg_lo:[0,1] neg_hi:[0,1]
	ds_write2_b64 v97, v[40:41], v[44:45] offset0:6 offset1:7
	v_pk_add_f32 v[44:45], v[48:49], v[52:53] op_sel:[1,0] op_sel_hi:[0,1] neg_lo:[0,1] neg_hi:[0,1]
	v_pk_add_f32 v[40:41], v[112:113], v[108:109] op_sel:[0,1] op_sel_hi:[1,0] neg_lo:[0,1] neg_hi:[0,1]
	v_mov_b32_e32 v48, v45
	v_mov_b32_e32 v49, v44
	ds_write2_b64 v97, v[40:41], v[48:49] offset0:8 offset1:9
	v_pk_add_f32 v[40:41], v[78:79], v[62:63]
	v_pk_add_f32 v[68:69], v[42:43], v[54:55]
	;; [unrolled: 1-line block ×6, first 2 shown]
	v_pk_add_f32 v[76:77], v[46:47], v[50:51] neg_lo:[0,1] neg_hi:[0,1]
	v_pk_add_f32 v[68:69], v[68:69], v[50:51]
	v_pk_add_f32 v[44:45], v[74:75], v[66:67]
	v_pk_add_f32 v[48:49], v[74:75], v[66:67] neg_lo:[0,1] neg_hi:[0,1]
	v_pk_add_f32 v[52:53], v[62:63], v[74:75] neg_lo:[0,1] neg_hi:[0,1]
	;; [unrolled: 1-line block ×4, first 2 shown]
	v_pk_add_f32 v[62:63], v[62:63], v[70:71]
	v_pk_add_f32 v[64:65], v[70:71], v[66:67] neg_lo:[0,1] neg_hi:[0,1]
	v_pk_add_f32 v[66:67], v[66:67], v[70:71] neg_lo:[0,1] neg_hi:[0,1]
	v_pk_add_f32 v[40:41], v[40:41], v[70:71]
	v_pk_add_f32 v[70:71], v[54:55], v[58:59] neg_lo:[0,1] neg_hi:[0,1]
	v_pk_add_f32 v[74:75], v[46:47], v[54:55] neg_lo:[0,1] neg_hi:[0,1]
	;; [unrolled: 1-line block ×3, first 2 shown]
	v_pk_add_f32 v[46:47], v[46:47], v[50:51]
	v_pk_add_f32 v[98:99], v[50:51], v[58:59] neg_lo:[0,1] neg_hi:[0,1]
	v_pk_add_f32 v[50:51], v[58:59], v[50:51] neg_lo:[0,1] neg_hi:[0,1]
	v_pk_add_f32 v[58:59], v[68:69], v[58:59]
	v_pk_fma_f32 v[68:69], v[72:73], 0.5, v[42:43] op_sel_hi:[1,0,1] neg_lo:[1,0,0] neg_hi:[1,0,0]
	v_pk_mul_f32 v[72:73], v[76:77], s[14:15] op_sel_hi:[1,0]
	v_pk_add_f32 v[56:57], v[56:57], v[66:67]
	v_pk_add_f32 v[66:67], v[74:75], v[98:99]
	v_pk_add_f32 v[74:75], v[68:69], v[72:73] op_sel:[0,1] op_sel_hi:[1,0] neg_lo:[0,1] neg_hi:[0,1]
	v_pk_add_f32 v[68:69], v[68:69], v[72:73] op_sel:[0,1] op_sel_hi:[1,0]
	v_pk_mul_f32 v[72:73], v[70:71], s[16:17] op_sel_hi:[1,0]
	v_pk_fma_f32 v[44:45], v[44:45], 0.5, v[78:79] op_sel_hi:[1,0,1] neg_lo:[1,0,0] neg_hi:[1,0,0]
	v_pk_add_f32 v[68:69], v[68:69], v[72:73] op_sel:[0,1] op_sel_hi:[1,0] neg_lo:[0,1] neg_hi:[0,1]
	v_pk_add_f32 v[72:73], v[74:75], v[72:73] op_sel:[0,1] op_sel_hi:[1,0]
	v_mov_b32_e32 v75, v69
	v_mov_b32_e32 v74, v72
	v_pk_fma_f32 v[74:75], v[66:67], s[8:9], v[74:75] op_sel_hi:[1,0,1]
	v_pk_fma_f32 v[62:63], v[62:63], 0.5, v[78:79] op_sel_hi:[1,0,1] neg_lo:[1,0,0] neg_hi:[1,0,0]
	v_pk_mul_f32 v[78:79], v[74:75], s[14:15] op_sel_hi:[1,0]
	v_mov_b32_e32 v69, v73
	v_pk_fma_f32 v[98:99], v[74:75], s[8:9], v[78:79] op_sel:[0,0,1] op_sel_hi:[1,0,0]
	v_pk_fma_f32 v[74:75], v[74:75], s[8:9], v[78:79] op_sel:[0,0,1] op_sel_hi:[1,0,0] neg_lo:[0,0,1] neg_hi:[0,0,1]
	v_pk_fma_f32 v[42:43], v[46:47], 0.5, v[42:43] op_sel_hi:[1,0,1] neg_lo:[1,0,0] neg_hi:[1,0,0]
	v_mov_b32_e32 v99, v75
	v_pk_mul_f32 v[74:75], v[48:49], s[14:15] op_sel_hi:[1,0]
	v_pk_add_f32 v[46:47], v[52:53], v[64:65]
	v_pk_mul_f32 v[52:53], v[60:61], s[14:15] op_sel_hi:[1,0]
	v_pk_add_f32 v[78:79], v[62:63], v[74:75] op_sel:[0,1] op_sel_hi:[1,0] neg_lo:[0,1] neg_hi:[0,1]
	v_pk_add_f32 v[62:63], v[62:63], v[74:75] op_sel:[0,1] op_sel_hi:[1,0]
	v_pk_mul_f32 v[74:75], v[60:61], s[16:17] op_sel_hi:[1,0]
	v_pk_fma_f32 v[66:67], v[66:67], s[8:9], v[68:69] op_sel_hi:[1,0,1]
	v_pk_add_f32 v[60:61], v[44:45], v[52:53] op_sel:[0,1] op_sel_hi:[1,0]
	v_pk_add_f32 v[44:45], v[44:45], v[52:53] op_sel:[0,1] op_sel_hi:[1,0] neg_lo:[0,1] neg_hi:[0,1]
	v_pk_mul_f32 v[52:53], v[70:71], s[14:15] op_sel_hi:[1,0]
	v_pk_add_f32 v[62:63], v[62:63], v[74:75] op_sel:[0,1] op_sel_hi:[1,0] neg_lo:[0,1] neg_hi:[0,1]
	v_pk_add_f32 v[74:75], v[78:79], v[74:75] op_sel:[0,1] op_sel_hi:[1,0]
	v_pk_mul_f32 v[68:69], v[66:67], s[8:9] op_sel_hi:[1,0]
	v_pk_add_f32 v[50:51], v[54:55], v[50:51]
	v_pk_add_f32 v[54:55], v[42:43], v[52:53] op_sel:[0,1] op_sel_hi:[1,0]
	v_pk_add_f32 v[42:43], v[42:43], v[52:53] op_sel:[0,1] op_sel_hi:[1,0] neg_lo:[0,1] neg_hi:[0,1]
	v_pk_mul_f32 v[52:53], v[76:77], s[16:17] op_sel_hi:[1,0]
	v_pk_fma_f32 v[66:67], v[66:67], s[2:3], v[68:69] op_sel:[0,0,1] op_sel_hi:[1,1,0] neg_lo:[0,0,1] neg_hi:[0,0,1]
	v_mov_b32_e32 v68, v74
	v_mov_b32_e32 v69, v63
	v_mov_b32_e32 v63, v75
	v_pk_add_f32 v[54:55], v[52:53], v[54:55] op_sel:[1,0] op_sel_hi:[0,1]
	v_pk_fma_f32 v[68:69], v[56:57], s[8:9], v[68:69] op_sel_hi:[1,0,1]
	v_pk_fma_f32 v[56:57], v[56:57], s[8:9], v[62:63] op_sel_hi:[1,0,1]
	v_mul_i32_i24_e32 v62, 10, v82
	v_pk_mul_f32 v[48:49], v[48:49], s[16:17] op_sel_hi:[1,0]
	v_pk_add_f32 v[42:43], v[42:43], v[52:53] op_sel:[0,1] op_sel_hi:[1,0] neg_lo:[0,1] neg_hi:[0,1]
	v_pk_fma_f32 v[52:53], v[50:51], s[8:9], v[54:55] op_sel_hi:[1,0,1]
	v_lshl_add_u32 v74, v62, 3, 0
	v_pk_add_f32 v[62:63], v[68:69], v[98:99]
	v_pk_add_f32 v[72:73], v[56:57], v[66:67] op_sel:[0,1] op_sel_hi:[1,0]
	v_pk_add_f32 v[44:45], v[44:45], v[48:49] op_sel:[0,1] op_sel_hi:[1,0] neg_lo:[0,1] neg_hi:[0,1]
	v_pk_add_f32 v[48:49], v[60:61], v[48:49] op_sel:[0,1] op_sel_hi:[1,0]
	v_pk_mul_f32 v[52:53], v[52:53], s[10:11] op_sel_hi:[0,1]
	v_pk_fma_f32 v[60:61], v[50:51], s[8:9], v[42:43] op_sel_hi:[1,0,1]
	ds_write2_b64 v74, v[62:63], v[72:73] offset0:2 offset1:3
	v_pk_fma_f32 v[62:63], v[60:61], s[12:13], v[52:53] op_sel:[1,0,0]
	v_pk_fma_f32 v[52:53], v[60:61], s[12:13], v[52:53] op_sel:[1,0,0] neg_lo:[0,0,1] neg_hi:[0,0,1]
	v_mov_b32_e32 v43, v55
	v_mov_b32_e32 v63, v53
	;; [unrolled: 1-line block ×5, first 2 shown]
	v_pk_fma_f32 v[42:43], v[50:51], s[8:9], v[42:43] op_sel_hi:[1,0,1]
	v_pk_fma_f32 v[52:53], v[46:47], s[8:9], v[52:53] op_sel_hi:[1,0,1]
	v_pk_fma_f32 v[44:45], v[46:47], s[8:9], v[44:45] op_sel_hi:[1,0,1]
	v_pk_mul_f32 v[46:47], v[42:43], s[10:11] op_sel_hi:[1,0]
	v_pk_add_f32 v[60:61], v[40:41], v[58:59]
	v_pk_fma_f32 v[42:43], v[42:43], s[6:7], v[46:47] op_sel:[0,0,1] op_sel_hi:[1,1,0] neg_lo:[0,0,1] neg_hi:[0,0,1]
	v_pk_add_f32 v[40:41], v[40:41], v[58:59] neg_lo:[0,1] neg_hi:[0,1]
	v_pk_add_f32 v[46:47], v[44:45], v[42:43] op_sel:[1,0] op_sel_hi:[0,1]
	v_mov_b32_e32 v48, v47
	v_mov_b32_e32 v49, v46
	ds_write2_b64 v74, v[48:49], v[40:41] offset0:4 offset1:5
	v_pk_add_f32 v[40:41], v[52:53], v[62:63] neg_lo:[0,1] neg_hi:[0,1]
	v_pk_add_f32 v[46:47], v[68:69], v[98:99] neg_lo:[0,1] neg_hi:[0,1]
	v_pk_add_f32 v[42:43], v[44:45], v[42:43] op_sel:[1,0] op_sel_hi:[0,1] neg_lo:[0,1] neg_hi:[0,1]
	ds_write2_b64 v74, v[40:41], v[46:47] offset0:6 offset1:7
	v_pk_add_f32 v[40:41], v[56:57], v[66:67] op_sel:[0,1] op_sel_hi:[1,0] neg_lo:[0,1] neg_hi:[0,1]
	v_mov_b32_e32 v44, v43
	v_mov_b32_e32 v45, v42
	ds_write2_b64 v74, v[40:41], v[44:45] offset0:8 offset1:9
	v_pk_add_f32 v[40:41], v[28:29], v[24:25] neg_lo:[0,1] neg_hi:[0,1]
	v_pk_add_f32 v[42:43], v[32:33], v[36:37] neg_lo:[0,1] neg_hi:[0,1]
	v_pk_add_f32 v[44:45], v[16:17], v[4:5] neg_lo:[0,1] neg_hi:[0,1]
	v_pk_add_f32 v[40:41], v[40:41], v[42:43]
	v_pk_add_f32 v[42:43], v[8:9], v[12:13] neg_lo:[0,1] neg_hi:[0,1]
	v_pk_add_f32 v[46:47], v[8:9], v[16:17] neg_lo:[0,1] neg_hi:[0,1]
	v_pk_add_f32 v[42:43], v[42:43], v[44:45]
	v_pk_add_f32 v[44:45], v[12:13], v[4:5]
	v_pk_mul_f32 v[48:49], v[46:47], s[14:15] op_sel_hi:[1,0]
	v_pk_fma_f32 v[44:45], v[44:45], 0.5, v[0:1] op_sel_hi:[1,0,1] neg_lo:[1,0,0] neg_hi:[1,0,0]
	v_pk_add_f32 v[64:65], v[52:53], v[62:63]
	v_pk_add_f32 v[50:51], v[44:45], v[48:49] op_sel:[0,1] op_sel_hi:[1,0] neg_lo:[0,1] neg_hi:[0,1]
	v_pk_add_f32 v[44:45], v[44:45], v[48:49] op_sel:[0,1] op_sel_hi:[1,0]
	v_pk_add_f32 v[48:49], v[12:13], v[4:5] neg_lo:[0,1] neg_hi:[0,1]
	ds_write2_b64 v74, v[60:61], v[64:65] offset1:1
	v_pk_mul_f32 v[52:53], v[48:49], s[16:17] op_sel_hi:[1,0]
	v_pk_mul_f32 v[48:49], v[48:49], s[14:15] op_sel_hi:[1,0]
	v_pk_add_f32 v[44:45], v[44:45], v[52:53] op_sel:[0,1] op_sel_hi:[1,0] neg_lo:[0,1] neg_hi:[0,1]
	v_pk_add_f32 v[50:51], v[50:51], v[52:53] op_sel:[0,1] op_sel_hi:[1,0]
	v_mov_b32_e32 v53, v45
	v_mov_b32_e32 v52, v50
	v_pk_fma_f32 v[52:53], v[42:43], s[8:9], v[52:53] op_sel_hi:[1,0,1]
	v_mov_b32_e32 v45, v51
	v_pk_mul_f32 v[54:55], v[52:53], s[14:15] op_sel_hi:[1,0]
	v_pk_fma_f32 v[42:43], v[42:43], s[8:9], v[44:45] op_sel_hi:[1,0,1]
	v_pk_fma_f32 v[56:57], v[52:53], s[8:9], v[54:55] op_sel:[0,0,1] op_sel_hi:[1,0,0]
	v_pk_fma_f32 v[52:53], v[52:53], s[8:9], v[54:55] op_sel:[0,0,1] op_sel_hi:[1,0,0] neg_lo:[0,0,1] neg_hi:[0,0,1]
	v_pk_add_f32 v[54:55], v[28:29], v[32:33] neg_lo:[0,1] neg_hi:[0,1]
	v_mov_b32_e32 v57, v53
	v_pk_add_f32 v[52:53], v[24:25], v[36:37]
	v_pk_mul_f32 v[58:59], v[54:55], s[14:15] op_sel_hi:[1,0]
	v_pk_fma_f32 v[52:53], v[52:53], 0.5, v[20:21] op_sel_hi:[1,0,1] neg_lo:[1,0,0] neg_hi:[1,0,0]
	v_pk_mul_f32 v[44:45], v[42:43], s[8:9] op_sel_hi:[1,0]
	v_pk_add_f32 v[60:61], v[52:53], v[58:59] op_sel:[0,1] op_sel_hi:[1,0] neg_lo:[0,1] neg_hi:[0,1]
	v_pk_add_f32 v[52:53], v[52:53], v[58:59] op_sel:[0,1] op_sel_hi:[1,0]
	v_pk_add_f32 v[58:59], v[24:25], v[36:37] neg_lo:[0,1] neg_hi:[0,1]
	v_pk_fma_f32 v[42:43], v[42:43], s[2:3], v[44:45] op_sel:[0,0,1] op_sel_hi:[1,1,0] neg_lo:[0,0,1] neg_hi:[0,0,1]
	v_pk_mul_f32 v[62:63], v[58:59], s[16:17] op_sel_hi:[1,0]
	v_mul_i32_i24_e32 v50, 10, v88
	v_pk_add_f32 v[52:53], v[52:53], v[62:63] op_sel:[0,1] op_sel_hi:[1,0] neg_lo:[0,1] neg_hi:[0,1]
	v_pk_add_f32 v[60:61], v[60:61], v[62:63] op_sel:[0,1] op_sel_hi:[1,0]
	v_mov_b32_e32 v45, v53
	v_mov_b32_e32 v44, v60
	v_mov_b32_e32 v53, v61
	v_pk_fma_f32 v[44:45], v[40:41], s[8:9], v[44:45] op_sel_hi:[1,0,1]
	v_pk_fma_f32 v[40:41], v[40:41], s[8:9], v[52:53] op_sel_hi:[1,0,1]
	v_lshl_add_u32 v75, v50, 3, 0
	v_pk_add_f32 v[50:51], v[44:45], v[56:57]
	v_pk_add_f32 v[52:53], v[40:41], v[42:43] op_sel:[0,1] op_sel_hi:[1,0]
	ds_write2_b64 v75, v[50:51], v[52:53] offset0:2 offset1:3
	v_pk_add_f32 v[50:51], v[24:25], v[28:29] neg_lo:[0,1] neg_hi:[0,1]
	v_pk_add_f32 v[52:53], v[36:37], v[32:33] neg_lo:[0,1] neg_hi:[0,1]
	v_pk_mul_f32 v[58:59], v[58:59], s[14:15] op_sel_hi:[1,0]
	v_pk_add_f32 v[50:51], v[50:51], v[52:53]
	v_pk_add_f32 v[52:53], v[28:29], v[32:33]
	v_pk_mul_f32 v[54:55], v[54:55], s[16:17] op_sel_hi:[1,0]
	v_pk_fma_f32 v[52:53], v[52:53], 0.5, v[20:21] op_sel_hi:[1,0,1] neg_lo:[1,0,0] neg_hi:[1,0,0]
	v_pk_mul_f32 v[46:47], v[46:47], s[16:17] op_sel_hi:[1,0]
	v_pk_add_f32 v[60:61], v[52:53], v[58:59] op_sel:[0,1] op_sel_hi:[1,0]
	v_pk_add_f32 v[52:53], v[52:53], v[58:59] op_sel:[0,1] op_sel_hi:[1,0] neg_lo:[0,1] neg_hi:[0,1]
	v_pk_add_f32 v[58:59], v[12:13], v[8:9] neg_lo:[0,1] neg_hi:[0,1]
	v_pk_add_f32 v[52:53], v[52:53], v[54:55] op_sel:[0,1] op_sel_hi:[1,0] neg_lo:[0,1] neg_hi:[0,1]
	v_pk_add_f32 v[54:55], v[60:61], v[54:55] op_sel:[0,1] op_sel_hi:[1,0]
	v_pk_add_f32 v[60:61], v[4:5], v[16:17] neg_lo:[0,1] neg_hi:[0,1]
	v_pk_add_f32 v[20:21], v[20:21], v[24:25]
	v_pk_add_f32 v[58:59], v[58:59], v[60:61]
	;; [unrolled: 1-line block ×4, first 2 shown]
	v_pk_fma_f32 v[60:61], v[60:61], 0.5, v[0:1] op_sel_hi:[1,0,1] neg_lo:[1,0,0] neg_hi:[1,0,0]
	v_pk_add_f32 v[0:1], v[0:1], v[12:13]
	v_pk_add_f32 v[62:63], v[60:61], v[48:49] op_sel:[0,1] op_sel_hi:[1,0]
	v_pk_add_f32 v[48:49], v[60:61], v[48:49] op_sel:[0,1] op_sel_hi:[1,0] neg_lo:[0,1] neg_hi:[0,1]
	v_pk_add_f32 v[60:61], v[46:47], v[62:63] op_sel:[1,0] op_sel_hi:[0,1]
	v_pk_add_f32 v[46:47], v[48:49], v[46:47] op_sel:[0,1] op_sel_hi:[1,0] neg_lo:[0,1] neg_hi:[0,1]
	v_pk_fma_f32 v[48:49], v[58:59], s[8:9], v[60:61] op_sel_hi:[1,0,1]
	v_pk_add_f32 v[0:1], v[0:1], v[8:9]
	v_pk_mul_f32 v[48:49], v[48:49], s[10:11] op_sel_hi:[0,1]
	v_pk_fma_f32 v[62:63], v[58:59], s[8:9], v[46:47] op_sel_hi:[1,0,1]
	v_pk_add_f32 v[0:1], v[0:1], v[16:17]
	v_pk_fma_f32 v[64:65], v[62:63], s[12:13], v[48:49] op_sel:[1,0,0]
	v_pk_fma_f32 v[48:49], v[62:63], s[12:13], v[48:49] op_sel:[1,0,0] neg_lo:[0,0,1] neg_hi:[0,0,1]
	v_pk_add_f32 v[20:21], v[20:21], v[32:33]
	v_pk_add_f32 v[0:1], v[0:1], v[4:5]
	v_mov_b32_e32 v4, v54
	v_mov_b32_e32 v5, v53
	v_mov_b32_e32 v65, v49
	v_pk_add_f32 v[20:21], v[20:21], v[36:37]
	v_pk_fma_f32 v[4:5], v[50:51], s[8:9], v[4:5] op_sel_hi:[1,0,1]
	v_pk_add_f32 v[8:9], v[20:21], v[0:1]
	v_pk_add_f32 v[12:13], v[4:5], v[64:65]
	v_mov_b32_e32 v47, v61
	ds_write2_b64 v75, v[8:9], v[12:13] offset1:1
	v_pk_fma_f32 v[12:13], v[58:59], s[8:9], v[46:47] op_sel_hi:[1,0,1]
	v_mov_b32_e32 v53, v55
	v_pk_mul_f32 v[16:17], v[12:13], s[10:11] op_sel_hi:[1,0]
	v_pk_fma_f32 v[8:9], v[50:51], s[8:9], v[52:53] op_sel_hi:[1,0,1]
	v_pk_fma_f32 v[12:13], v[12:13], s[6:7], v[16:17] op_sel:[0,0,1] op_sel_hi:[1,1,0] neg_lo:[0,0,1] neg_hi:[0,0,1]
	v_pk_add_f32 v[0:1], v[20:21], v[0:1] neg_lo:[0,1] neg_hi:[0,1]
	v_pk_add_f32 v[16:17], v[8:9], v[12:13] op_sel:[1,0] op_sel_hi:[0,1]
	v_mov_b32_e32 v20, v17
	v_mov_b32_e32 v21, v16
	ds_write2_b64 v75, v[20:21], v[0:1] offset0:4 offset1:5
	v_pk_add_f32 v[0:1], v[4:5], v[64:65] neg_lo:[0,1] neg_hi:[0,1]
	v_pk_add_f32 v[4:5], v[44:45], v[56:57] neg_lo:[0,1] neg_hi:[0,1]
	ds_write2_b64 v75, v[0:1], v[4:5] offset0:6 offset1:7
	v_pk_add_f32 v[4:5], v[8:9], v[12:13] op_sel:[1,0] op_sel_hi:[0,1] neg_lo:[0,1] neg_hi:[0,1]
	v_pk_add_f32 v[0:1], v[40:41], v[42:43] op_sel:[0,1] op_sel_hi:[1,0] neg_lo:[0,1] neg_hi:[0,1]
	v_mov_b32_e32 v8, v5
	v_mov_b32_e32 v9, v4
	s_movk_i32 s9, 0x1000
	v_cmp_gt_u32_e32 vcc, 36, v80
	ds_write2_b64 v75, v[0:1], v[8:9] offset0:8 offset1:9
	s_and_saveexec_b64 s[14:15], vcc
	s_cbranch_execz .LBB0_15
; %bb.14:
	v_pk_add_f32 v[12:13], v[30:31], v[34:35]
	v_pk_add_f32 v[16:17], v[26:27], v[38:39] neg_lo:[0,1] neg_hi:[0,1]
	s_mov_b32 s16, s3
	v_pk_add_f32 v[4:5], v[2:3], v[14:15]
	v_pk_fma_f32 v[12:13], v[12:13], 0.5, v[22:23] op_sel_hi:[1,0,1] neg_lo:[1,0,0] neg_hi:[1,0,0]
	v_pk_mul_f32 v[20:21], v[16:17], s[16:17] op_sel_hi:[1,0]
	v_pk_add_f32 v[24:25], v[30:31], v[34:35] neg_lo:[0,1] neg_hi:[0,1]
	s_mov_b32 s18, s7
	v_pk_add_f32 v[32:33], v[26:27], v[30:31] neg_lo:[0,1] neg_hi:[0,1]
	v_pk_add_f32 v[36:37], v[38:39], v[34:35] neg_lo:[0,1] neg_hi:[0,1]
	v_pk_add_f32 v[4:5], v[4:5], v[10:11]
	v_pk_mul_f32 v[28:29], v[24:25], s[18:19] op_sel_hi:[1,0]
	v_pk_add_f32 v[32:33], v[32:33], v[36:37]
	v_pk_add_f32 v[36:37], v[12:13], v[20:21] op_sel:[0,1] op_sel_hi:[1,0]
	v_pk_add_f32 v[40:41], v[10:11], v[18:19] neg_lo:[0,1] neg_hi:[0,1]
	v_pk_add_f32 v[42:43], v[14:15], v[6:7]
	v_pk_add_f32 v[4:5], v[4:5], v[18:19]
	v_pk_add_f32 v[12:13], v[12:13], v[20:21] op_sel:[0,1] op_sel_hi:[1,0] neg_lo:[0,1] neg_hi:[0,1]
	v_pk_add_f32 v[20:21], v[36:37], v[28:29] op_sel:[0,1] op_sel_hi:[1,0]
	v_pk_add_f32 v[36:37], v[14:15], v[6:7] neg_lo:[0,1] neg_hi:[0,1]
	v_pk_fma_f32 v[42:43], v[42:43], 0.5, v[2:3] op_sel_hi:[1,0,1] neg_lo:[1,0,0] neg_hi:[1,0,0]
	v_pk_mul_f32 v[44:45], v[40:41], s[16:17] op_sel_hi:[1,0]
	v_pk_add_f32 v[48:49], v[10:11], v[14:15] neg_lo:[0,1] neg_hi:[0,1]
	v_pk_add_f32 v[50:51], v[18:19], v[6:7] neg_lo:[0,1] neg_hi:[0,1]
	v_pk_add_f32 v[4:5], v[4:5], v[6:7]
	v_pk_add_f32 v[12:13], v[12:13], v[28:29] op_sel:[0,1] op_sel_hi:[1,0] neg_lo:[0,1] neg_hi:[0,1]
	v_pk_mul_f32 v[46:47], v[36:37], s[18:19] op_sel_hi:[1,0]
	v_pk_add_f32 v[48:49], v[48:49], v[50:51]
	v_pk_add_f32 v[50:51], v[42:43], v[44:45] op_sel:[0,1] op_sel_hi:[1,0] neg_lo:[0,1] neg_hi:[0,1]
	v_pk_add_f32 v[42:43], v[42:43], v[44:45] op_sel:[0,1] op_sel_hi:[1,0]
	v_pk_add_f32 v[14:15], v[14:15], v[10:11] neg_lo:[0,1] neg_hi:[0,1]
	v_pk_add_f32 v[6:7], v[6:7], v[18:19] neg_lo:[0,1] neg_hi:[0,1]
	v_pk_add_f32 v[10:11], v[10:11], v[18:19]
	v_mov_b32_e32 v29, v13
	v_pk_add_f32 v[42:43], v[42:43], v[46:47] op_sel:[0,1] op_sel_hi:[1,0] neg_lo:[0,1] neg_hi:[0,1]
	v_pk_add_f32 v[44:45], v[50:51], v[46:47] op_sel:[0,1] op_sel_hi:[1,0]
	v_pk_add_f32 v[6:7], v[14:15], v[6:7]
	v_pk_fma_f32 v[2:3], v[10:11], 0.5, v[2:3] op_sel_hi:[1,0,1] neg_lo:[1,0,0] neg_hi:[1,0,0]
	v_mov_b32_e32 v13, v21
	v_pk_mul_f32 v[14:15], v[36:37], s[16:17] op_sel_hi:[1,0]
	v_pk_add_f32 v[0:1], v[22:23], v[26:27]
	v_mov_b32_e32 v46, v44
	v_mov_b32_e32 v47, v43
	v_pk_fma_f32 v[10:11], v[32:33], s[8:9], v[12:13] op_sel_hi:[1,0,1]
	v_pk_mul_f32 v[12:13], v[40:41], s[18:19] op_sel_hi:[1,0]
	v_pk_add_f32 v[18:19], v[2:3], v[14:15] op_sel:[0,1] op_sel_hi:[1,0]
	v_pk_add_f32 v[2:3], v[2:3], v[14:15] op_sel:[0,1] op_sel_hi:[1,0] neg_lo:[0,1] neg_hi:[0,1]
	v_pk_add_f32 v[0:1], v[0:1], v[30:31]
	v_pk_fma_f32 v[46:47], v[48:49], s[8:9], v[46:47] op_sel_hi:[1,0,1]
	v_pk_add_f32 v[30:31], v[30:31], v[26:27] neg_lo:[0,1] neg_hi:[0,1]
	v_pk_add_f32 v[26:27], v[26:27], v[38:39]
	v_pk_add_f32 v[14:15], v[12:13], v[18:19] op_sel:[1,0] op_sel_hi:[0,1]
	v_pk_add_f32 v[2:3], v[2:3], v[12:13] op_sel:[0,1] op_sel_hi:[1,0] neg_lo:[0,1] neg_hi:[0,1]
	v_pk_add_f32 v[0:1], v[0:1], v[34:35]
	v_pk_add_f32 v[34:35], v[34:35], v[38:39] neg_lo:[0,1] neg_hi:[0,1]
	v_pk_fma_f32 v[22:23], v[26:27], 0.5, v[22:23] op_sel_hi:[1,0,1] neg_lo:[1,0,0] neg_hi:[1,0,0]
	v_pk_mul_f32 v[26:27], v[46:47], s[16:17] op_sel_hi:[1,0]
	v_mov_b32_e32 v12, v2
	v_mov_b32_e32 v13, v15
	v_pk_add_f32 v[30:31], v[30:31], v[34:35]
	v_pk_fma_f32 v[34:35], v[46:47], s[8:9], v[26:27] op_sel:[0,0,1] op_sel_hi:[1,0,0]
	v_pk_fma_f32 v[26:27], v[46:47], s[8:9], v[26:27] op_sel:[0,0,1] op_sel_hi:[1,0,0] neg_lo:[0,0,1] neg_hi:[0,0,1]
	v_pk_mul_f32 v[24:25], v[24:25], s[16:17] op_sel_hi:[1,0]
	v_pk_fma_f32 v[12:13], v[6:7], s[8:9], v[12:13] op_sel_hi:[1,0,1]
	v_pk_fma_f32 v[2:3], v[6:7], s[8:9], v[2:3] op_sel_hi:[1,0,1]
	;; [unrolled: 1-line block ×3, first 2 shown]
	v_mov_b32_e32 v35, v27
	v_pk_mul_f32 v[16:17], v[16:17], s[18:19] op_sel_hi:[1,0]
	v_pk_add_f32 v[26:27], v[22:23], v[24:25] op_sel:[0,1] op_sel_hi:[1,0] neg_lo:[0,1] neg_hi:[0,1]
	v_pk_add_f32 v[22:23], v[22:23], v[24:25] op_sel:[0,1] op_sel_hi:[1,0]
	v_pk_mul_f32 v[14:15], v[12:13], s[10:11] op_sel_hi:[1,0]
	v_pk_mul_f32 v[6:7], v[6:7], s[10:11] op_sel_hi:[0,1]
	v_pk_add_f32 v[22:23], v[22:23], v[16:17] op_sel:[0,1] op_sel_hi:[1,0] neg_lo:[0,1] neg_hi:[0,1]
	v_pk_add_f32 v[16:17], v[26:27], v[16:17] op_sel:[0,1] op_sel_hi:[1,0]
	v_pk_fma_f32 v[12:13], v[12:13], s[6:7], v[14:15] op_sel:[0,0,1] op_sel_hi:[1,1,0] neg_lo:[0,0,1] neg_hi:[0,0,1]
	v_pk_fma_f32 v[14:15], v[2:3], s[12:13], v[6:7] op_sel:[1,0,0]
	v_pk_fma_f32 v[2:3], v[2:3], s[12:13], v[6:7] op_sel:[1,0,0] neg_lo:[0,0,1] neg_hi:[0,0,1]
	v_mul_i32_i24_e32 v8, 10, v86
	v_pk_add_f32 v[0:1], v[0:1], v[38:39]
	v_mov_b32_e32 v28, v20
	v_mov_b32_e32 v24, v16
	;; [unrolled: 1-line block ×5, first 2 shown]
	v_pk_add_f32 v[2:3], v[10:11], v[12:13] op_sel:[1,0] op_sel_hi:[0,1]
	v_lshl_add_u32 v52, v8, 3, 0
	v_pk_add_f32 v[8:9], v[0:1], v[4:5]
	v_pk_fma_f32 v[28:29], v[32:33], s[8:9], v[28:29] op_sel_hi:[1,0,1]
	v_pk_fma_f32 v[24:25], v[30:31], s[8:9], v[24:25] op_sel_hi:[1,0,1]
	;; [unrolled: 1-line block ×3, first 2 shown]
	v_pk_add_f32 v[0:1], v[0:1], v[4:5] neg_lo:[0,1] neg_hi:[0,1]
	v_mov_b32_e32 v4, v3
	v_mov_b32_e32 v5, v2
	v_pk_mul_f32 v[42:43], v[38:39], s[8:9] op_sel_hi:[1,0]
	v_mov_b32_e32 v23, v17
	ds_write2_b64 v52, v[4:5], v[0:1] offset0:4 offset1:5
	v_pk_add_f32 v[0:1], v[28:29], v[14:15] neg_lo:[0,1] neg_hi:[0,1]
	v_pk_add_f32 v[2:3], v[24:25], v[34:35] neg_lo:[0,1] neg_hi:[0,1]
	v_pk_fma_f32 v[38:39], v[38:39], s[2:3], v[42:43] op_sel:[0,0,1] op_sel_hi:[1,1,0] neg_lo:[0,0,1] neg_hi:[0,0,1]
	v_pk_fma_f32 v[16:17], v[30:31], s[8:9], v[22:23] op_sel_hi:[1,0,1]
	ds_write2_b64 v52, v[0:1], v[2:3] offset0:6 offset1:7
	v_pk_add_f32 v[2:3], v[10:11], v[12:13] op_sel:[1,0] op_sel_hi:[0,1] neg_lo:[0,1] neg_hi:[0,1]
	v_pk_add_f32 v[26:27], v[24:25], v[34:35]
	v_pk_add_f32 v[22:23], v[16:17], v[38:39] op_sel:[0,1] op_sel_hi:[1,0]
	v_pk_add_f32 v[6:7], v[28:29], v[14:15]
	v_pk_add_f32 v[0:1], v[16:17], v[38:39] op_sel:[0,1] op_sel_hi:[1,0] neg_lo:[0,1] neg_hi:[0,1]
	v_mov_b32_e32 v4, v3
	v_mov_b32_e32 v5, v2
	ds_write2_b64 v52, v[26:27], v[22:23] offset0:2 offset1:3
	ds_write2_b64 v52, v[8:9], v[6:7] offset1:1
	ds_write2_b64 v52, v[0:1], v[4:5] offset0:8 offset1:9
.LBB0_15:
	s_or_b64 exec, exec, s[14:15]
	s_movk_i32 s2, 0xcd
	v_mul_lo_u16_sdwa v0, v86, s2 dst_sel:DWORD dst_unused:UNUSED_PAD src0_sel:BYTE_0 src1_sel:DWORD
	v_add_u32_e32 v70, 0xf0, v80
	v_lshrrev_b16_e32 v52, 11, v0
	s_mov_b32 s3, 0xcccd
	v_mul_lo_u16_e32 v0, 10, v52
	v_mul_u32_u24_sdwa v1, v70, s3 dst_sel:DWORD dst_unused:UNUSED_PAD src0_sel:WORD_0 src1_sel:DWORD
	v_mov_b32_e32 v48, 5
	v_lshrrev_b32_e32 v53, 19, v1
	v_sub_u16_e32 v56, v86, v0
	v_mul_lo_u16_e32 v1, 10, v53
	v_mul_u32_u24_sdwa v0, v56, v48 dst_sel:DWORD dst_unused:UNUSED_PAD src0_sel:BYTE_0 src1_sel:DWORD
	v_sub_u16_e32 v55, v70, v1
	v_lshlrev_b32_e32 v49, 3, v0
	v_mul_lo_u16_sdwa v0, v88, s2 dst_sel:DWORD dst_unused:UNUSED_PAD src0_sel:BYTE_0 src1_sel:DWORD
	v_mul_u32_u24_e32 v1, 5, v55
	v_lshrrev_b16_e32 v57, 11, v0
	v_lshlrev_b32_e32 v32, 3, v1
	v_mul_lo_u16_e32 v0, 10, v57
	s_waitcnt lgkmcnt(0)
	; wave barrier
	s_waitcnt lgkmcnt(0)
	global_load_dwordx4 v[8:11], v32, s[4:5] offset:16
	global_load_dwordx4 v[24:27], v32, s[4:5]
	global_load_dwordx4 v[28:31], v49, s[4:5]
	global_load_dwordx4 v[20:23], v49, s[4:5] offset:16
	v_sub_u16_e32 v58, v88, v0
	v_mul_u32_u24_sdwa v0, v58, v48 dst_sel:DWORD dst_unused:UNUSED_PAD src0_sel:BYTE_0 src1_sel:DWORD
	v_lshlrev_b32_e32 v61, 3, v0
	v_mul_lo_u16_sdwa v0, v82, s2 dst_sel:DWORD dst_unused:UNUSED_PAD src0_sel:BYTE_0 src1_sel:DWORD
	global_load_dwordx4 v[16:19], v61, s[4:5]
	v_lshrrev_b16_e32 v59, 11, v0
	v_mul_lo_u16_e32 v0, 10, v59
	v_sub_u16_e32 v60, v82, v0
	v_mul_u32_u24_sdwa v0, v60, v48 dst_sel:DWORD dst_unused:UNUSED_PAD src0_sel:BYTE_0 src1_sel:DWORD
	v_lshlrev_b32_e32 v76, 3, v0
	global_load_dwordx4 v[12:15], v76, s[4:5]
	global_load_dwordx4 v[4:7], v61, s[4:5] offset:16
	global_load_dwordx4 v[0:3], v76, s[4:5] offset:16
	ds_read2_b64 v[44:47], v81 offset0:28 offset1:88
	ds_read2_b64 v[36:39], v83 offset0:132 offset1:192
	global_load_dwordx2 v[50:51], v32, s[4:5] offset:32
	ds_read2_b64 v[40:43], v87 offset0:84 offset1:144
	ds_read2_b64 v[32:35], v92 offset0:188 offset1:248
	;; [unrolled: 1-line block ×3, first 2 shown]
	global_load_dwordx2 v[72:73], v49, s[4:5] offset:32
	global_load_dwordx2 v[98:99], v61, s[4:5] offset:32
	;; [unrolled: 1-line block ×3, first 2 shown]
	v_mul_lo_u16_sdwa v77, v80, s2 dst_sel:DWORD dst_unused:UNUSED_PAD src0_sel:BYTE_0 src1_sel:DWORD
	v_lshrrev_b16_e32 v158, 11, v77
	v_mul_lo_u16_e32 v77, 10, v158
	v_sub_u16_e32 v159, v80, v77
	v_add_u32_e32 v71, 0x2400, v90
	v_mul_u32_u24_sdwa v48, v159, v48 dst_sel:DWORD dst_unused:UNUSED_PAD src0_sel:BYTE_0 src1_sel:DWORD
	v_add_u32_e32 v54, 0x12c, v80
	ds_read2_b64 v[66:69], v71 offset0:108 offset1:168
	v_lshlrev_b32_e32 v146, 3, v48
	global_load_dwordx2 v[102:103], v146, s[4:5] offset:32
	v_mul_u32_u24_sdwa v49, v54, s3 dst_sel:DWORD dst_unused:UNUSED_PAD src0_sel:WORD_0 src1_sel:DWORD
	v_lshrrev_b32_e32 v97, 19, v49
	v_mul_lo_u16_e32 v49, 10, v97
	v_sub_u16_e32 v61, v54, v49
	v_mul_u32_u24_e32 v49, 5, v61
	v_lshlrev_b32_e32 v142, 3, v49
	s_mov_b32 s2, 0x3f5db3d7
	s_mov_b32 s3, 0xbf5db3d7
	s_movk_i32 s6, 0xffb8
	s_mov_b32 s7, 0x8889
	s_waitcnt vmcnt(12) lgkmcnt(0)
	v_pk_mul_f32 v[104:105], v[68:69], v[8:9] op_sel:[0,1]
	s_waitcnt vmcnt(11)
	v_pk_mul_f32 v[76:77], v[46:47], v[24:25] op_sel:[0,1]
	v_mov_b32_e32 v78, v27
	v_mov_b32_e32 v106, v11
	s_waitcnt vmcnt(10)
	v_pk_mul_f32 v[108:109], v[44:45], v[28:29] op_sel:[0,1]
	v_mov_b32_e32 v110, v31
	s_waitcnt vmcnt(9)
	v_pk_mul_f32 v[112:113], v[66:67], v[20:21] op_sel:[0,1]
	v_mov_b32_e32 v114, v23
	v_pk_fma_f32 v[48:49], v[46:47], v[24:25], v[76:77] op_sel:[0,0,1] op_sel_hi:[1,1,0] neg_lo:[0,0,1] neg_hi:[0,0,1]
	v_pk_fma_f32 v[116:117], v[46:47], v[24:25], v[76:77] op_sel:[0,0,1] op_sel_hi:[1,0,0]
	v_pk_fma_f32 v[46:47], v[44:45], v[28:29], v[108:109] op_sel:[0,0,1] op_sel_hi:[1,1,0] neg_lo:[0,0,1] neg_hi:[0,0,1]
	v_pk_fma_f32 v[108:109], v[44:45], v[28:29], v[108:109] op_sel:[0,0,1] op_sel_hi:[1,0,0]
	;; [unrolled: 2-line block ×4, first 2 shown]
	v_pk_mul_f32 v[20:21], v[38:39], v[78:79] op_sel_hi:[1,0]
	v_pk_mul_f32 v[44:45], v[42:43], v[106:107] op_sel_hi:[1,0]
	;; [unrolled: 1-line block ×4, first 2 shown]
	v_pk_fma_f32 v[8:9], v[38:39], v[26:27], v[20:21] op_sel:[0,0,1] op_sel_hi:[1,1,0] neg_lo:[0,0,1] neg_hi:[0,0,1]
	v_pk_fma_f32 v[106:107], v[38:39], v[26:27], v[20:21] op_sel:[0,0,1] op_sel_hi:[1,0,0]
	v_pk_fma_f32 v[20:21], v[42:43], v[10:11], v[44:45] op_sel:[0,0,1] op_sel_hi:[1,1,0] neg_lo:[0,0,1] neg_hi:[0,0,1]
	v_pk_fma_f32 v[110:111], v[42:43], v[10:11], v[44:45] op_sel:[0,0,1] op_sel_hi:[1,0,0]
	;; [unrolled: 2-line block ×4, first 2 shown]
	ds_read2_b64 v[40:43], v83 offset0:12 offset1:72
	ds_read2_b64 v[66:69], v94 offset0:116 offset1:176
	;; [unrolled: 1-line block ×3, first 2 shown]
	s_waitcnt vmcnt(8)
	v_pk_mul_f32 v[22:23], v[64:65], v[16:17] op_sel:[0,1]
	v_mov_b32_e32 v47, v109
	v_pk_fma_f32 v[36:37], v[64:65], v[16:17], v[22:23] op_sel:[0,0,1] op_sel_hi:[1,1,0] neg_lo:[0,0,1] neg_hi:[0,0,1]
	v_pk_fma_f32 v[120:121], v[64:65], v[16:17], v[22:23] op_sel:[0,0,1] op_sel_hi:[1,0,0]
	v_mov_b32_e32 v16, v19
	s_waitcnt lgkmcnt(2)
	v_pk_mul_f32 v[16:17], v[42:43], v[16:17] op_sel_hi:[1,0]
	v_mov_b32_e32 v21, v111
	v_pk_fma_f32 v[38:39], v[42:43], v[18:19], v[16:17] op_sel:[0,0,1] op_sel_hi:[1,1,0] neg_lo:[0,0,1] neg_hi:[0,0,1]
	v_pk_fma_f32 v[122:123], v[42:43], v[18:19], v[16:17] op_sel:[0,0,1] op_sel_hi:[1,0,0]
	s_waitcnt vmcnt(7)
	v_pk_mul_f32 v[16:17], v[62:63], v[12:13] op_sel:[0,1]
	v_mov_b32_e32 v25, v105
	v_pk_fma_f32 v[44:45], v[62:63], v[12:13], v[16:17] op_sel:[0,0,1] op_sel_hi:[1,1,0] neg_lo:[0,0,1] neg_hi:[0,0,1]
	v_pk_fma_f32 v[124:125], v[62:63], v[12:13], v[16:17] op_sel:[0,0,1] op_sel_hi:[1,0,0]
	v_mov_b32_e32 v12, v15
	v_pk_mul_f32 v[12:13], v[40:41], v[12:13] op_sel_hi:[1,0]
	v_mov_b32_e32 v45, v125
	v_pk_fma_f32 v[126:127], v[40:41], v[14:15], v[12:13] op_sel:[0,0,1] op_sel_hi:[1,1,0] neg_lo:[0,0,1] neg_hi:[0,0,1]
	v_pk_fma_f32 v[128:129], v[40:41], v[14:15], v[12:13] op_sel:[0,0,1] op_sel_hi:[1,0,0]
	s_waitcnt vmcnt(6) lgkmcnt(1)
	v_pk_mul_f32 v[12:13], v[68:69], v[4:5] op_sel:[0,1]
	v_mov_b32_e32 v127, v129
	v_pk_fma_f32 v[40:41], v[68:69], v[4:5], v[12:13] op_sel:[0,0,1] op_sel_hi:[1,1,0] neg_lo:[0,0,1] neg_hi:[0,0,1]
	v_pk_fma_f32 v[130:131], v[68:69], v[4:5], v[12:13] op_sel:[0,0,1] op_sel_hi:[1,0,0]
	v_mov_b32_e32 v4, v7
	ds_read2_b64 v[12:15], v92 offset0:68 offset1:128
	s_waitcnt lgkmcnt(1)
	v_pk_mul_f32 v[4:5], v[78:79], v[4:5] op_sel_hi:[1,0]
	v_mov_b32_e32 v37, v121
	v_pk_fma_f32 v[42:43], v[78:79], v[6:7], v[4:5] op_sel:[0,0,1] op_sel_hi:[1,1,0] neg_lo:[0,0,1] neg_hi:[0,0,1]
	v_pk_fma_f32 v[78:79], v[78:79], v[6:7], v[4:5] op_sel:[0,0,1] op_sel_hi:[1,0,0]
	s_waitcnt vmcnt(5)
	v_pk_mul_f32 v[4:5], v[66:67], v[0:1] op_sel:[0,1]
	v_mad_i32_i24 v78, v82, s6, v74
	v_pk_fma_f32 v[132:133], v[66:67], v[0:1], v[4:5] op_sel:[0,0,1] op_sel_hi:[1,1,0] neg_lo:[0,0,1] neg_hi:[0,0,1]
	v_pk_fma_f32 v[134:135], v[66:67], v[0:1], v[4:5] op_sel:[0,0,1] op_sel_hi:[1,0,0]
	s_waitcnt vmcnt(4)
	v_pk_mul_f32 v[4:5], v[34:35], v[50:51] op_sel:[0,1]
	v_mov_b32_e32 v0, v3
	v_pk_fma_f32 v[6:7], v[34:35], v[50:51], v[4:5] op_sel:[0,0,1] op_sel_hi:[1,1,0] neg_lo:[0,0,1] neg_hi:[0,0,1]
	v_pk_fma_f32 v[34:35], v[34:35], v[50:51], v[4:5] op_sel:[0,0,1] op_sel_hi:[1,0,0]
	s_waitcnt vmcnt(3)
	v_pk_mul_f32 v[4:5], v[32:33], v[72:73] op_sel:[0,1]
	v_pk_mul_f32 v[0:1], v[76:77], v[0:1] op_sel_hi:[1,0]
	v_pk_fma_f32 v[30:31], v[32:33], v[72:73], v[4:5] op_sel:[0,0,1] op_sel_hi:[1,1,0] neg_lo:[0,0,1] neg_hi:[0,0,1]
	v_pk_fma_f32 v[50:51], v[32:33], v[72:73], v[4:5] op_sel:[0,0,1] op_sel_hi:[1,0,0]
	s_waitcnt vmcnt(2) lgkmcnt(0)
	v_pk_mul_f32 v[4:5], v[14:15], v[98:99] op_sel:[0,1]
	v_pk_fma_f32 v[136:137], v[76:77], v[2:3], v[0:1] op_sel:[0,0,1] op_sel_hi:[1,1,0] neg_lo:[0,0,1] neg_hi:[0,0,1]
	v_pk_fma_f32 v[72:73], v[14:15], v[98:99], v[4:5] op_sel:[0,0,1] op_sel_hi:[1,0,0]
	v_pk_fma_f32 v[32:33], v[14:15], v[98:99], v[4:5] op_sel:[0,0,1] op_sel_hi:[1,1,0] neg_lo:[0,0,1] neg_hi:[0,0,1]
	s_waitcnt vmcnt(1)
	v_pk_mul_f32 v[4:5], v[12:13], v[100:101] op_sel:[0,1]
	v_add_u32_e32 v72, 0x3400, v90
	v_pk_fma_f32 v[138:139], v[76:77], v[2:3], v[0:1] op_sel:[0,0,1] op_sel_hi:[1,0,0]
	global_load_dwordx4 v[0:3], v142, s[4:5]
	v_pk_fma_f32 v[98:99], v[12:13], v[100:101], v[4:5] op_sel:[0,0,1] op_sel_hi:[1,1,0] neg_lo:[0,0,1] neg_hi:[0,0,1]
	v_pk_fma_f32 v[100:101], v[12:13], v[100:101], v[4:5] op_sel:[0,0,1] op_sel_hi:[1,0,0]
	ds_read2_b64 v[12:15], v72 offset0:76 offset1:136
	global_load_dwordx2 v[140:141], v142, s[4:5] offset:32
	global_load_dwordx4 v[16:19], v142, s[4:5] offset:16
	ds_read2_b64 v[62:65], v89 offset0:100 offset1:160
	v_mov_b32_e32 v33, 3
	v_mul_u32_u24_e32 v7, 0x1e0, v158
	s_waitcnt vmcnt(3) lgkmcnt(1)
	v_pk_mul_f32 v[4:5], v[14:15], v[102:103] op_sel:[0,1]
	v_lshlrev_b32_sdwa v9, v33, v159 dst_sel:DWORD dst_unused:UNUSED_PAD src0_sel:DWORD src1_sel:BYTE_0
	v_pk_fma_f32 v[76:77], v[14:15], v[102:103], v[4:5] op_sel:[0,0,1] op_sel_hi:[1,1,0] neg_lo:[0,0,1] neg_hi:[0,0,1]
	v_pk_fma_f32 v[102:103], v[14:15], v[102:103], v[4:5] op_sel:[0,0,1] op_sel_hi:[1,0,0]
	v_add3_u32 v99, 0, v7, v9
	v_mov_b32_e32 v77, v103
	v_mov_b32_e32 v137, v139
	v_mul_u32_u24_e32 v34, 0x1e0, v59
	v_mov_b32_e32 v133, v135
	v_mov_b32_e32 v43, v79
	;; [unrolled: 1-line block ×9, first 2 shown]
	s_waitcnt vmcnt(0)
	v_mov_b32_e32 v4, v19
	v_pk_mul_f32 v[4:5], v[12:13], v[4:5] op_sel_hi:[1,0]
	s_nop 0
	v_pk_fma_f32 v[14:15], v[12:13], v[18:19], v[4:5] op_sel:[0,0,1] op_sel_hi:[1,1,0] neg_lo:[0,0,1] neg_hi:[0,0,1]
	v_pk_fma_f32 v[142:143], v[12:13], v[18:19], v[4:5] op_sel:[0,0,1] op_sel_hi:[1,0,0]
	s_waitcnt lgkmcnt(0)
	v_pk_mul_f32 v[4:5], v[62:63], v[16:17] op_sel:[0,1]
	v_mov_b32_e32 v15, v143
	v_pk_fma_f32 v[12:13], v[62:63], v[16:17], v[4:5] op_sel:[0,0,1] op_sel_hi:[1,1,0] neg_lo:[0,0,1] neg_hi:[0,0,1]
	v_pk_fma_f32 v[144:145], v[62:63], v[16:17], v[4:5] op_sel:[0,0,1] op_sel_hi:[1,0,0]
	global_load_dwordx4 v[16:19], v146, s[4:5] offset:16
	global_load_dwordx4 v[66:69], v146, s[4:5]
	v_mov_b32_e32 v13, v145
	s_waitcnt vmcnt(1)
	v_mov_b32_e32 v4, v19
	v_pk_mul_f32 v[4:5], v[64:65], v[4:5] op_sel_hi:[1,0]
	s_nop 0
	v_pk_fma_f32 v[146:147], v[64:65], v[18:19], v[4:5] op_sel:[0,0,1] op_sel_hi:[1,1,0] neg_lo:[0,0,1] neg_hi:[0,0,1]
	v_pk_fma_f32 v[148:149], v[64:65], v[18:19], v[4:5] op_sel:[0,0,1] op_sel_hi:[1,0,0]
	ds_read2_b64 v[62:65], v96 offset0:124 offset1:184
	v_mov_b32_e32 v147, v149
	s_waitcnt lgkmcnt(0)
	v_pk_mul_f32 v[4:5], v[64:65], v[16:17] op_sel:[0,1]
	s_nop 0
	v_pk_fma_f32 v[150:151], v[64:65], v[16:17], v[4:5] op_sel:[0,0,1] op_sel_hi:[1,1,0] neg_lo:[0,0,1] neg_hi:[0,0,1]
	v_pk_fma_f32 v[64:65], v[64:65], v[16:17], v[4:5] op_sel:[0,0,1] op_sel_hi:[1,0,0]
	v_mov_b32_e32 v4, v3
	v_pk_mul_f32 v[4:5], v[62:63], v[4:5] op_sel_hi:[1,0]
	v_mov_b32_e32 v151, v65
	v_pk_fma_f32 v[22:23], v[62:63], v[2:3], v[4:5] op_sel:[0,0,1] op_sel_hi:[1,1,0] neg_lo:[0,0,1] neg_hi:[0,0,1]
	v_pk_fma_f32 v[62:63], v[62:63], v[2:3], v[4:5] op_sel:[0,0,1] op_sel_hi:[1,0,0]
	ds_read2_b64 v[2:5], v81 offset0:148 offset1:208
	v_mov_b32_e32 v23, v63
	s_waitcnt lgkmcnt(0)
	v_pk_mul_f32 v[18:19], v[2:3], v[0:1] op_sel:[0,1]
	s_nop 0
	v_pk_fma_f32 v[16:17], v[2:3], v[0:1], v[18:19] op_sel:[0,0,1] op_sel_hi:[1,1,0] neg_lo:[0,0,1] neg_hi:[0,0,1]
	v_pk_fma_f32 v[152:153], v[2:3], v[0:1], v[18:19] op_sel:[0,0,1] op_sel_hi:[1,0,0]
	ds_read_b64 v[0:1], v90 offset:16800
	v_mov_b32_e32 v17, v153
	v_pk_add_f32 v[50:51], v[16:17], v[12:13]
	s_waitcnt lgkmcnt(0)
	v_pk_mul_f32 v[2:3], v[0:1], v[140:141] op_sel:[0,1]
	s_nop 0
	v_pk_fma_f32 v[18:19], v[0:1], v[140:141], v[2:3] op_sel:[0,0,1] op_sel_hi:[1,1,0] neg_lo:[0,0,1] neg_hi:[0,0,1]
	v_pk_fma_f32 v[140:141], v[0:1], v[140:141], v[2:3] op_sel:[0,0,1] op_sel_hi:[1,0,0]
	s_waitcnt vmcnt(0)
	v_mov_b32_e32 v0, v69
	v_pk_mul_f32 v[0:1], v[4:5], v[0:1] op_sel_hi:[1,0]
	v_mov_b32_e32 v19, v141
	v_pk_fma_f32 v[154:155], v[4:5], v[68:69], v[0:1] op_sel:[0,0,1] op_sel_hi:[1,1,0] neg_lo:[0,0,1] neg_hi:[0,0,1]
	v_pk_fma_f32 v[4:5], v[4:5], v[68:69], v[0:1] op_sel:[0,0,1] op_sel_hi:[1,0,0]
	ds_read2_b64 v[0:3], v93 offset0:44 offset1:104
	v_mov_b32_e32 v155, v5
	v_pk_add_f32 v[50:51], v[50:51], v[18:19]
	s_waitcnt lgkmcnt(0)
	v_pk_mul_f32 v[68:69], v[2:3], v[66:67] op_sel:[0,1]
	s_nop 0
	v_pk_fma_f32 v[156:157], v[2:3], v[66:67], v[68:69] op_sel:[0,0,1] op_sel_hi:[1,1,0] neg_lo:[0,0,1] neg_hi:[0,0,1]
	v_pk_fma_f32 v[2:3], v[2:3], v[66:67], v[68:69] op_sel:[0,0,1] op_sel_hi:[1,0,0]
	v_pk_add_f32 v[66:67], v[154:155], v[146:147]
	v_mov_b32_e32 v157, v3
	ds_read2_b64 v[2:5], v90 offset1:240
	v_pk_add_f32 v[68:69], v[154:155], v[146:147] neg_lo:[0,1] neg_hi:[0,1]
	v_pk_add_f32 v[102:103], v[156:157], v[150:151]
	s_waitcnt lgkmcnt(0)
	v_pk_add_f32 v[64:65], v[2:3], v[154:155]
	v_pk_fma_f32 v[2:3], v[66:67], 0.5, v[2:3] op_sel_hi:[1,0,1] neg_lo:[1,0,0] neg_hi:[1,0,0]
	v_pk_mul_f32 v[66:67], v[68:69], s[2:3] op_sel_hi:[1,0]
	v_pk_add_f32 v[102:103], v[102:103], v[76:77]
	v_pk_add_f32 v[68:69], v[66:67], v[2:3] op_sel:[1,0] op_sel_hi:[0,1]
	v_pk_add_f32 v[2:3], v[2:3], v[66:67] op_sel:[0,1] op_sel_hi:[1,0] neg_lo:[0,1] neg_hi:[0,1]
	v_pk_add_f32 v[66:67], v[150:151], v[76:77]
	v_pk_add_f32 v[76:77], v[150:151], v[76:77] neg_lo:[0,1] neg_hi:[0,1]
	v_pk_fma_f32 v[66:67], v[66:67], 0.5, v[156:157] op_sel_hi:[1,0,1] neg_lo:[1,0,0] neg_hi:[1,0,0]
	v_pk_add_f32 v[64:65], v[64:65], v[146:147]
	v_pk_fma_f32 v[146:147], v[76:77], s[2:3], v[66:67] op_sel:[0,0,1] op_sel_hi:[1,0,0]
	v_pk_fma_f32 v[66:67], v[76:77], s[2:3], v[66:67] op_sel:[0,0,1] op_sel_hi:[1,0,0] neg_lo:[1,0,0] neg_hi:[1,0,0]
	v_lshl_add_u32 v76, v86, 3, 0
	v_mul_f32_e32 v9, 0xbf5db3d7, v147
	v_mad_i32_i24 v77, v88, s6, v75
	ds_read_b64 v[148:149], v76
	ds_read_b64 v[150:151], v77
	;; [unrolled: 1-line block ×3, first 2 shown]
	v_mul_f32_e32 v7, 0x3f5db3d7, v66
	v_fmac_f32_e32 v9, 0.5, v66
	v_mov_b32_e32 v66, v146
	v_fmac_f32_e32 v7, 0.5, v147
	v_pk_mul_f32 v[146:147], v[66:67], 0.5 op_sel_hi:[1,0]
	v_pk_add_f32 v[158:159], v[64:65], v[102:103]
	v_pk_fma_f32 v[66:67], v[66:67], s[2:3], v[146:147] op_sel:[0,0,1] op_sel_hi:[1,1,0] neg_lo:[0,0,1] neg_hi:[0,0,1]
	v_pk_add_f32 v[64:65], v[64:65], v[102:103] neg_lo:[0,1] neg_hi:[0,1]
	v_mov_b32_e32 v102, v2
	v_mov_b32_e32 v103, v69
	v_add_f32_e32 v156, v68, v7
	v_add_f32_e32 v157, v3, v9
	v_pk_add_f32 v[146:147], v[102:103], v[66:67]
	v_sub_f32_e32 v2, v68, v7
	v_sub_f32_e32 v3, v3, v9
	v_pk_add_f32 v[66:67], v[102:103], v[66:67] neg_lo:[0,1] neg_hi:[0,1]
	s_waitcnt lgkmcnt(0)
	; wave barrier
	s_waitcnt lgkmcnt(0)
	ds_write2_b64 v99, v[158:159], v[156:157] offset1:10
	ds_write2_b64 v99, v[146:147], v[64:65] offset0:20 offset1:30
	v_mov_b32_e32 v9, v107
	ds_write2_b64 v99, v[2:3], v[66:67] offset0:40 offset1:50
	v_mov_b32_e32 v99, v101
	v_pk_add_f32 v[100:101], v[126:127], v[136:137]
	v_pk_add_f32 v[106:107], v[126:127], v[136:137] neg_lo:[0,1] neg_hi:[0,1]
	v_mov_b32_e32 v7, v35
	v_lshlrev_b32_sdwa v35, v33, v60 dst_sel:DWORD dst_unused:UNUSED_PAD src0_sel:DWORD src1_sel:BYTE_0
	v_pk_fma_f32 v[100:101], v[100:101], 0.5, v[154:155] op_sel_hi:[1,0,1] neg_lo:[1,0,0] neg_hi:[1,0,0]
	v_pk_mul_f32 v[106:107], v[106:107], s[2:3] op_sel_hi:[1,0]
	v_add3_u32 v110, 0, v34, v35
	v_mul_u32_u24_e32 v34, 0x1e0, v57
	v_lshlrev_b32_sdwa v35, v33, v58 dst_sel:DWORD dst_unused:UNUSED_PAD src0_sel:DWORD src1_sel:BYTE_0
	v_pk_add_f32 v[66:67], v[44:45], v[132:133]
	v_pk_add_f32 v[108:109], v[106:107], v[100:101] op_sel:[1,0] op_sel_hi:[0,1]
	v_pk_add_f32 v[100:101], v[100:101], v[106:107] op_sel:[0,1] op_sel_hi:[1,0] neg_lo:[0,1] neg_hi:[0,1]
	v_pk_add_f32 v[106:107], v[132:133], v[98:99]
	v_add3_u32 v111, 0, v34, v35
	v_lshlrev_b32_sdwa v33, v33, v56 dst_sel:DWORD dst_unused:UNUSED_PAD src0_sel:DWORD src1_sel:BYTE_0
	v_mul_u32_u24_e32 v34, 0x1e0, v52
	v_pk_add_f32 v[66:67], v[66:67], v[98:99]
	v_pk_fma_f32 v[44:45], v[106:107], 0.5, v[44:45] op_sel_hi:[1,0,1] neg_lo:[1,0,0] neg_hi:[1,0,0]
	v_pk_add_f32 v[98:99], v[132:133], v[98:99] neg_lo:[0,1] neg_hi:[0,1]
	v_add3_u32 v112, 0, v34, v33
	v_mul_u32_u24_e32 v33, 0x1e0, v53
	v_lshlrev_b32_e32 v34, 3, v55
	v_pk_fma_f32 v[106:107], v[98:99], s[2:3], v[44:45] op_sel:[0,0,1] op_sel_hi:[1,0,0]
	v_add3_u32 v55, 0, v33, v34
	v_mul_u32_u24_e32 v33, 0x1e0, v97
	v_lshlrev_b32_e32 v34, 3, v61
	v_pk_fma_f32 v[44:45], v[98:99], s[2:3], v[44:45] op_sel:[0,0,1] op_sel_hi:[1,0,0] neg_lo:[1,0,0] neg_hi:[1,0,0]
	v_mul_f32_e32 v79, 0xbf5db3d7, v107
	v_add3_u32 v97, 0, v33, v34
	v_mov_b32_e32 v33, v73
	v_mul_f32_e32 v73, 0x3f5db3d7, v44
	v_fmac_f32_e32 v79, 0.5, v44
	v_mov_b32_e32 v44, v106
	v_pk_add_f32 v[2:3], v[154:155], v[126:127]
	v_fmac_f32_e32 v73, 0.5, v107
	v_pk_mul_f32 v[106:107], v[44:45], 0.5 op_sel_hi:[1,0]
	v_pk_add_f32 v[2:3], v[2:3], v[136:137]
	v_pk_fma_f32 v[44:45], v[44:45], s[2:3], v[106:107] op_sel:[0,0,1] op_sel_hi:[1,1,0] neg_lo:[0,0,1] neg_hi:[0,0,1]
	v_mov_b32_e32 v106, v100
	v_mov_b32_e32 v107, v109
	v_pk_add_f32 v[104:105], v[2:3], v[66:67]
	v_add_f32_e32 v98, v108, v73
	v_sub_f32_e32 v100, v108, v73
	v_pk_add_f32 v[108:109], v[106:107], v[44:45]
	v_pk_add_f32 v[2:3], v[2:3], v[66:67] neg_lo:[0,1] neg_hi:[0,1]
	v_add_f32_e32 v99, v101, v79
	v_sub_f32_e32 v101, v101, v79
	ds_write2_b64 v110, v[108:109], v[2:3] offset0:20 offset1:30
	v_pk_add_f32 v[2:3], v[106:107], v[44:45] neg_lo:[0,1] neg_hi:[0,1]
	v_pk_add_f32 v[102:103], v[150:151], v[38:39]
	ds_write2_b64 v110, v[104:105], v[98:99] offset1:10
	v_pk_add_f32 v[98:99], v[36:37], v[40:41]
	ds_write2_b64 v110, v[100:101], v[2:3] offset0:40 offset1:50
	v_pk_add_f32 v[2:3], v[38:39], v[42:43]
	v_pk_add_f32 v[38:39], v[38:39], v[42:43] neg_lo:[0,1] neg_hi:[0,1]
	v_pk_add_f32 v[44:45], v[40:41], v[32:33]
	v_pk_add_f32 v[98:99], v[98:99], v[32:33]
	v_pk_fma_f32 v[2:3], v[2:3], 0.5, v[150:151] op_sel_hi:[1,0,1] neg_lo:[1,0,0] neg_hi:[1,0,0]
	v_pk_mul_f32 v[38:39], v[38:39], s[2:3] op_sel_hi:[1,0]
	v_pk_fma_f32 v[36:37], v[44:45], 0.5, v[36:37] op_sel_hi:[1,0,1] neg_lo:[1,0,0] neg_hi:[1,0,0]
	v_pk_add_f32 v[32:33], v[40:41], v[32:33] neg_lo:[0,1] neg_hi:[0,1]
	v_pk_add_f32 v[102:103], v[102:103], v[42:43]
	v_pk_add_f32 v[42:43], v[38:39], v[2:3] op_sel:[1,0] op_sel_hi:[0,1]
	v_pk_fma_f32 v[40:41], v[32:33], s[2:3], v[36:37] op_sel:[0,0,1] op_sel_hi:[1,0,0]
	v_pk_fma_f32 v[32:33], v[32:33], s[2:3], v[36:37] op_sel:[0,0,1] op_sel_hi:[1,0,0] neg_lo:[1,0,0] neg_hi:[1,0,0]
	v_pk_add_f32 v[2:3], v[2:3], v[38:39] op_sel:[0,1] op_sel_hi:[1,0] neg_lo:[0,1] neg_hi:[0,1]
	v_mov_b32_e32 v39, v43
	v_mov_b32_e32 v36, v40
	;; [unrolled: 1-line block ×3, first 2 shown]
	v_mul_f32_e32 v43, 0xbf5db3d7, v41
	v_mov_b32_e32 v38, v2
	v_mul_f32_e32 v2, 0x3f5db3d7, v32
	v_fmac_f32_e32 v43, 0.5, v32
	v_pk_mul_f32 v[32:33], v[36:37], 0.5 op_sel_hi:[1,0]
	v_fmac_f32_e32 v2, 0.5, v41
	v_pk_fma_f32 v[32:33], v[36:37], s[2:3], v[32:33] op_sel:[0,0,1] op_sel_hi:[1,1,0] neg_lo:[0,0,1] neg_hi:[0,0,1]
	v_add_f32_e32 v40, v42, v2
	v_add_f32_e32 v41, v3, v43
	v_pk_add_f32 v[36:37], v[38:39], v[32:33]
	v_sub_f32_e32 v2, v42, v2
	v_sub_f32_e32 v3, v3, v43
	v_pk_add_f32 v[32:33], v[38:39], v[32:33] neg_lo:[0,1] neg_hi:[0,1]
	v_pk_add_f32 v[62:63], v[148:149], v[10:11]
	ds_write2_b64 v111, v[2:3], v[32:33] offset0:40 offset1:50
	v_pk_add_f32 v[2:3], v[10:11], v[26:27]
	v_pk_add_f32 v[10:11], v[10:11], v[26:27] neg_lo:[0,1] neg_hi:[0,1]
	v_pk_add_f32 v[32:33], v[28:29], v[30:31]
	v_pk_add_f32 v[64:65], v[46:47], v[28:29]
	v_pk_fma_f32 v[2:3], v[2:3], 0.5, v[148:149] op_sel_hi:[1,0,1] neg_lo:[1,0,0] neg_hi:[1,0,0]
	v_pk_mul_f32 v[10:11], v[10:11], s[2:3] op_sel_hi:[1,0]
	v_pk_fma_f32 v[32:33], v[32:33], 0.5, v[46:47] op_sel_hi:[1,0,1] neg_lo:[1,0,0] neg_hi:[1,0,0]
	v_pk_add_f32 v[28:29], v[28:29], v[30:31] neg_lo:[0,1] neg_hi:[0,1]
	v_pk_add_f32 v[62:63], v[62:63], v[26:27]
	v_pk_add_f32 v[64:65], v[64:65], v[30:31]
	v_pk_add_f32 v[26:27], v[10:11], v[2:3] op_sel:[1,0] op_sel_hi:[0,1]
	v_pk_fma_f32 v[30:31], v[28:29], s[2:3], v[32:33] op_sel:[0,0,1] op_sel_hi:[1,0,0]
	v_pk_fma_f32 v[28:29], v[28:29], s[2:3], v[32:33] op_sel:[0,0,1] op_sel_hi:[1,0,0] neg_lo:[1,0,0] neg_hi:[1,0,0]
	v_pk_add_f32 v[2:3], v[2:3], v[10:11] op_sel:[0,1] op_sel_hi:[1,0] neg_lo:[0,1] neg_hi:[0,1]
	v_mov_b32_e32 v11, v27
	v_mov_b32_e32 v32, v30
	;; [unrolled: 1-line block ×3, first 2 shown]
	v_mul_f32_e32 v27, 0xbf5db3d7, v31
	v_mov_b32_e32 v10, v2
	v_mul_f32_e32 v2, 0x3f5db3d7, v28
	v_fmac_f32_e32 v27, 0.5, v28
	v_pk_mul_f32 v[28:29], v[32:33], 0.5 op_sel_hi:[1,0]
	v_pk_add_f32 v[104:105], v[102:103], v[98:99]
	v_fmac_f32_e32 v2, 0.5, v31
	v_pk_fma_f32 v[28:29], v[32:33], s[2:3], v[28:29] op_sel:[0,0,1] op_sel_hi:[1,1,0] neg_lo:[0,0,1] neg_hi:[0,0,1]
	ds_write2_b64 v111, v[104:105], v[40:41] offset1:10
	v_pk_add_f32 v[40:41], v[102:103], v[98:99] neg_lo:[0,1] neg_hi:[0,1]
	v_add_f32_e32 v30, v26, v2
	v_add_f32_e32 v31, v3, v27
	v_pk_add_f32 v[32:33], v[10:11], v[28:29]
	v_sub_f32_e32 v2, v26, v2
	v_sub_f32_e32 v3, v3, v27
	v_pk_add_f32 v[10:11], v[10:11], v[28:29] neg_lo:[0,1] neg_hi:[0,1]
	ds_write2_b64 v111, v[36:37], v[40:41] offset0:20 offset1:30
	ds_write2_b64 v112, v[2:3], v[10:11] offset0:40 offset1:50
	v_pk_add_f32 v[2:3], v[8:9], v[20:21]
	v_pk_add_f32 v[56:57], v[4:5], v[8:9]
	;; [unrolled: 1-line block ×3, first 2 shown]
	v_pk_fma_f32 v[2:3], v[2:3], 0.5, v[4:5] op_sel_hi:[1,0,1] neg_lo:[1,0,0] neg_hi:[1,0,0]
	v_pk_add_f32 v[4:5], v[8:9], v[20:21] neg_lo:[0,1] neg_hi:[0,1]
	v_pk_add_f32 v[10:11], v[24:25], v[6:7]
	v_pk_add_f32 v[58:59], v[58:59], v[6:7]
	v_pk_mul_f32 v[4:5], v[4:5], s[2:3] op_sel_hi:[1,0]
	v_pk_fma_f32 v[10:11], v[10:11], 0.5, v[48:49] op_sel_hi:[1,0,1] neg_lo:[1,0,0] neg_hi:[1,0,0]
	v_pk_add_f32 v[6:7], v[24:25], v[6:7] neg_lo:[0,1] neg_hi:[0,1]
	v_pk_add_f32 v[56:57], v[56:57], v[20:21]
	v_pk_add_f32 v[8:9], v[4:5], v[2:3] op_sel:[1,0] op_sel_hi:[0,1]
	v_pk_fma_f32 v[20:21], v[6:7], s[2:3], v[10:11] op_sel:[0,0,1] op_sel_hi:[1,0,0]
	v_pk_fma_f32 v[6:7], v[6:7], s[2:3], v[10:11] op_sel:[0,0,1] op_sel_hi:[1,0,0] neg_lo:[1,0,0] neg_hi:[1,0,0]
	v_pk_add_f32 v[2:3], v[2:3], v[4:5] op_sel:[0,1] op_sel_hi:[1,0] neg_lo:[0,1] neg_hi:[0,1]
	v_mov_b32_e32 v5, v9
	v_mov_b32_e32 v10, v20
	v_mov_b32_e32 v11, v7
	v_mul_f32_e32 v9, 0xbf5db3d7, v21
	v_mov_b32_e32 v4, v2
	v_mul_f32_e32 v2, 0x3f5db3d7, v6
	v_fmac_f32_e32 v9, 0.5, v6
	v_pk_mul_f32 v[6:7], v[10:11], 0.5 op_sel_hi:[1,0]
	v_fmac_f32_e32 v2, 0.5, v21
	v_pk_fma_f32 v[6:7], v[10:11], s[2:3], v[6:7] op_sel:[0,0,1] op_sel_hi:[1,1,0] neg_lo:[0,0,1] neg_hi:[0,0,1]
	v_pk_add_f32 v[68:69], v[62:63], v[64:65]
	v_pk_add_f32 v[26:27], v[62:63], v[64:65] neg_lo:[0,1] neg_hi:[0,1]
	v_add_f32_e32 v20, v8, v2
	v_add_f32_e32 v21, v3, v9
	v_pk_add_f32 v[10:11], v[4:5], v[6:7]
	v_sub_f32_e32 v2, v8, v2
	v_sub_f32_e32 v3, v3, v9
	v_pk_add_f32 v[4:5], v[4:5], v[6:7] neg_lo:[0,1] neg_hi:[0,1]
	ds_write2_b64 v112, v[68:69], v[30:31] offset1:10
	ds_write2_b64 v112, v[32:33], v[26:27] offset0:20 offset1:30
	ds_write2_b64 v55, v[2:3], v[4:5] offset0:40 offset1:50
	v_pk_add_f32 v[2:3], v[22:23], v[14:15]
	v_pk_add_f32 v[34:35], v[0:1], v[22:23]
	v_pk_add_f32 v[8:9], v[56:57], v[58:59] neg_lo:[0,1] neg_hi:[0,1]
	v_pk_fma_f32 v[0:1], v[2:3], 0.5, v[0:1] op_sel_hi:[1,0,1] neg_lo:[1,0,0] neg_hi:[1,0,0]
	v_pk_add_f32 v[2:3], v[22:23], v[14:15] neg_lo:[0,1] neg_hi:[0,1]
	v_pk_add_f32 v[6:7], v[12:13], v[18:19]
	ds_write2_b64 v55, v[10:11], v[8:9] offset0:20 offset1:30
	v_pk_mul_f32 v[2:3], v[2:3], s[2:3] op_sel_hi:[1,0]
	v_pk_fma_f32 v[6:7], v[6:7], 0.5, v[16:17] op_sel_hi:[1,0,1] neg_lo:[1,0,0] neg_hi:[1,0,0]
	v_pk_add_f32 v[8:9], v[12:13], v[18:19] neg_lo:[0,1] neg_hi:[0,1]
	v_pk_add_f32 v[4:5], v[2:3], v[0:1] op_sel:[1,0] op_sel_hi:[0,1]
	v_pk_fma_f32 v[10:11], v[8:9], s[2:3], v[6:7] op_sel:[0,0,1] op_sel_hi:[1,0,0]
	v_pk_fma_f32 v[6:7], v[8:9], s[2:3], v[6:7] op_sel:[0,0,1] op_sel_hi:[1,0,0] neg_lo:[1,0,0] neg_hi:[1,0,0]
	v_pk_add_f32 v[0:1], v[0:1], v[2:3] op_sel:[0,1] op_sel_hi:[1,0] neg_lo:[0,1] neg_hi:[0,1]
	v_mov_b32_e32 v3, v5
	v_mov_b32_e32 v8, v10
	v_mov_b32_e32 v9, v7
	v_mul_f32_e32 v5, 0xbf5db3d7, v11
	v_mov_b32_e32 v2, v0
	v_mul_f32_e32 v0, 0x3f5db3d7, v6
	v_fmac_f32_e32 v5, 0.5, v6
	v_pk_mul_f32 v[6:7], v[8:9], 0.5 op_sel_hi:[1,0]
	v_pk_add_f32 v[34:35], v[34:35], v[14:15]
	v_fmac_f32_e32 v0, 0.5, v11
	v_pk_fma_f32 v[6:7], v[8:9], s[2:3], v[6:7] op_sel:[0,0,1] op_sel_hi:[1,1,0] neg_lo:[0,0,1] neg_hi:[0,0,1]
	v_pk_add_f32 v[60:61], v[56:57], v[58:59]
	v_add_f32_e32 v10, v4, v0
	v_add_f32_e32 v11, v1, v5
	v_pk_add_f32 v[8:9], v[2:3], v[6:7]
	v_sub_f32_e32 v0, v4, v0
	v_sub_f32_e32 v1, v1, v5
	v_pk_add_f32 v[4:5], v[34:35], v[50:51] neg_lo:[0,1] neg_hi:[0,1]
	ds_write2_b64 v55, v[60:61], v[20:21] offset1:10
	ds_write2_b64 v97, v[8:9], v[4:5] offset0:20 offset1:30
	v_mul_u32_u24_sdwa v5, v70, s7 dst_sel:DWORD dst_unused:UNUSED_PAD src0_sel:WORD_0 src1_sel:DWORD
	v_lshrrev_b32_e32 v5, 21, v5
	s_movk_i32 s6, 0x89
	v_mul_lo_u16_e32 v5, 60, v5
	v_pk_add_f32 v[2:3], v[2:3], v[6:7] neg_lo:[0,1] neg_hi:[0,1]
	v_mul_lo_u16_sdwa v4, v86, s6 dst_sel:DWORD dst_unused:UNUSED_PAD src0_sel:BYTE_0 src1_sel:DWORD
	v_sub_u16_e32 v57, v70, v5
	ds_write2_b64 v97, v[0:1], v[2:3] offset0:40 offset1:50
	v_mul_u32_u24_e32 v0, 5, v80
	v_mul_u32_u24_e32 v5, 5, v57
	v_lshrrev_b16_e32 v4, 13, v4
	v_pk_add_f32 v[52:53], v[34:35], v[50:51]
	v_lshlrev_b32_e32 v79, 3, v0
	v_lshlrev_b32_e32 v5, 3, v5
	v_mul_lo_u16_e32 v4, 60, v4
	ds_write2_b64 v97, v[52:53], v[10:11] offset1:10
	s_waitcnt lgkmcnt(0)
	; wave barrier
	s_waitcnt lgkmcnt(0)
	global_load_dwordx2 v[46:47], v79, s[4:5] offset:432
	global_load_dwordx4 v[0:3], v79, s[4:5] offset:416
	global_load_dwordx4 v[48:51], v5, s[4:5] offset:400
	v_sub_u16_e32 v4, v86, v4
	v_and_b32_e32 v68, 0xff, v4
	v_mul_u32_u24_e32 v4, 5, v68
	v_lshlrev_b32_e32 v4, 3, v4
	global_load_dwordx4 v[36:39], v5, s[4:5] offset:416
	global_load_dwordx4 v[40:43], v4, s[4:5] offset:400
	;; [unrolled: 1-line block ×3, first 2 shown]
	global_load_dwordx2 v[58:59], v4, s[4:5] offset:432
	global_load_dwordx2 v[60:61], v5, s[4:5] offset:432
	v_mul_lo_u16_sdwa v4, v88, s6 dst_sel:DWORD dst_unused:UNUSED_PAD src0_sel:BYTE_0 src1_sel:DWORD
	v_lshrrev_b16_e32 v4, 13, v4
	v_mul_lo_u16_e32 v4, 60, v4
	v_sub_u16_e32 v4, v88, v4
	v_and_b32_e32 v69, 0xff, v4
	v_mul_u32_u24_e32 v4, 5, v69
	v_lshlrev_b32_e32 v24, 3, v4
	v_mul_u32_u24_sdwa v4, v54, s7 dst_sel:DWORD dst_unused:UNUSED_PAD src0_sel:WORD_0 src1_sel:DWORD
	v_lshrrev_b32_e32 v4, 21, v4
	v_mul_lo_u16_e32 v4, 60, v4
	global_load_dwordx2 v[52:53], v24, s[4:5] offset:432
	v_sub_u16_e32 v73, v54, v4
	v_mul_u32_u24_e32 v4, 5, v73
	v_lshlrev_b32_e32 v97, 3, v4
	global_load_dwordx4 v[20:23], v97, s[4:5] offset:416
	global_load_dwordx4 v[16:19], v24, s[4:5] offset:416
	;; [unrolled: 1-line block ×3, first 2 shown]
	ds_read2_b64 v[28:31], v72 offset0:76 offset1:136
	global_load_dwordx4 v[8:11], v24, s[4:5] offset:400
	global_load_dwordx4 v[12:15], v97, s[4:5] offset:400
	ds_read2_b64 v[24:27], v89 offset0:100 offset1:160
	ds_read2_b64 v[98:101], v81 offset0:28 offset1:88
	;; [unrolled: 1-line block ×6, first 2 shown]
	ds_read_b64 v[154:155], v90 offset:16800
	v_lshl_add_u32 v73, v73, 3, 0
	s_mov_b64 s[6:7], 0x1450
	s_waitcnt vmcnt(13) lgkmcnt(7)
	v_pk_mul_f32 v[64:65], v[30:31], v[46:47] op_sel:[0,1]
	s_waitcnt vmcnt(12)
	v_mov_b32_e32 v56, v3
	s_waitcnt vmcnt(11) lgkmcnt(5)
	v_pk_mul_f32 v[54:55], v[100:101], v[48:49] op_sel:[0,1]
	s_nop 0
	v_pk_fma_f32 v[44:45], v[100:101], v[48:49], v[54:55] op_sel:[0,0,1] op_sel_hi:[1,1,0] neg_lo:[0,0,1] neg_hi:[0,0,1]
	v_pk_fma_f32 v[62:63], v[100:101], v[48:49], v[54:55] op_sel:[0,0,1] op_sel_hi:[1,0,0]
	v_mov_b32_e32 v48, v51
	s_waitcnt lgkmcnt(4)
	v_pk_mul_f32 v[54:55], v[104:105], v[48:49] op_sel_hi:[1,0]
	s_waitcnt vmcnt(10) lgkmcnt(3)
	v_pk_mul_f32 v[100:101], v[108:109], v[36:37] op_sel:[0,1]
	v_pk_fma_f32 v[48:49], v[104:105], v[50:51], v[54:55] op_sel:[0,0,1] op_sel_hi:[1,1,0] neg_lo:[0,0,1] neg_hi:[0,0,1]
	v_pk_fma_f32 v[66:67], v[104:105], v[50:51], v[54:55] op_sel:[0,0,1] op_sel_hi:[1,0,0]
	s_waitcnt vmcnt(9)
	v_pk_mul_f32 v[54:55], v[98:99], v[40:41] op_sel:[0,1]
	v_mov_b32_e32 v49, v67
	v_pk_fma_f32 v[50:51], v[98:99], v[40:41], v[54:55] op_sel:[0,0,1] op_sel_hi:[1,1,0] neg_lo:[0,0,1] neg_hi:[0,0,1]
	v_pk_fma_f32 v[104:105], v[98:99], v[40:41], v[54:55] op_sel:[0,0,1] op_sel_hi:[1,0,0]
	v_mov_b32_e32 v40, v43
	v_pk_mul_f32 v[40:41], v[102:103], v[40:41] op_sel_hi:[1,0]
	v_mov_b32_e32 v45, v63
	v_pk_fma_f32 v[54:55], v[102:103], v[42:43], v[40:41] op_sel:[0,0,1] op_sel_hi:[1,1,0] neg_lo:[0,0,1] neg_hi:[0,0,1]
	v_pk_fma_f32 v[102:103], v[102:103], v[42:43], v[40:41] op_sel:[0,0,1] op_sel_hi:[1,0,0]
	v_pk_fma_f32 v[40:41], v[108:109], v[36:37], v[100:101] op_sel:[0,0,1] op_sel_hi:[1,1,0] neg_lo:[0,0,1] neg_hi:[0,0,1]
	v_pk_fma_f32 v[108:109], v[108:109], v[36:37], v[100:101] op_sel:[0,0,1] op_sel_hi:[1,0,0]
	v_mov_b32_e32 v36, v39
	s_waitcnt lgkmcnt(2)
	v_pk_mul_f32 v[42:43], v[112:113], v[36:37] op_sel_hi:[1,0]
	ds_read2_b64 v[98:101], v92 offset0:68 offset1:128
	v_pk_fma_f32 v[36:37], v[112:113], v[38:39], v[42:43] op_sel:[0,0,1] op_sel_hi:[1,1,0] neg_lo:[0,0,1] neg_hi:[0,0,1]
	v_pk_fma_f32 v[112:113], v[112:113], v[38:39], v[42:43] op_sel:[0,0,1] op_sel_hi:[1,0,0]
	s_waitcnt vmcnt(8)
	v_pk_mul_f32 v[42:43], v[106:107], v[32:33] op_sel:[0,1]
	v_lshl_add_u32 v102, v68, 3, 0
	v_pk_fma_f32 v[38:39], v[106:107], v[32:33], v[42:43] op_sel:[0,0,1] op_sel_hi:[1,1,0] neg_lo:[0,0,1] neg_hi:[0,0,1]
	v_pk_fma_f32 v[106:107], v[106:107], v[32:33], v[42:43] op_sel:[0,0,1] op_sel_hi:[1,0,0]
	v_mov_b32_e32 v32, v35
	v_pk_mul_f32 v[32:33], v[110:111], v[32:33] op_sel_hi:[1,0]
	v_mov_b32_e32 v55, v103
	v_pk_fma_f32 v[42:43], v[110:111], v[34:35], v[32:33] op_sel:[0,0,1] op_sel_hi:[1,1,0] neg_lo:[0,0,1] neg_hi:[0,0,1]
	v_pk_fma_f32 v[110:111], v[110:111], v[34:35], v[32:33] op_sel:[0,0,1] op_sel_hi:[1,0,0]
	s_waitcnt vmcnt(6) lgkmcnt(2)
	v_pk_mul_f32 v[34:35], v[116:117], v[60:61] op_sel:[0,1]
	v_mov_b32_e32 v51, v105
	v_pk_fma_f32 v[32:33], v[116:117], v[60:61], v[34:35] op_sel:[0,0,1] op_sel_hi:[1,1,0] neg_lo:[0,0,1] neg_hi:[0,0,1]
	v_pk_fma_f32 v[60:61], v[116:117], v[60:61], v[34:35] op_sel:[0,0,1] op_sel_hi:[1,0,0]
	v_pk_mul_f32 v[116:117], v[114:115], v[58:59] op_sel:[0,1]
	v_mov_b32_e32 v39, v107
	v_pk_fma_f32 v[34:35], v[114:115], v[58:59], v[116:117] op_sel:[0,0,1] op_sel_hi:[1,1,0] neg_lo:[0,0,1] neg_hi:[0,0,1]
	v_pk_fma_f32 v[58:59], v[114:115], v[58:59], v[116:117] op_sel:[0,0,1] op_sel_hi:[1,0,0]
	s_waitcnt lgkmcnt(0)
	v_pk_mul_f32 v[114:115], v[98:99], v[46:47] op_sel:[0,1]
	s_waitcnt vmcnt(5)
	v_pk_mul_f32 v[116:117], v[100:101], v[52:53] op_sel:[0,1]
	v_mov_b32_e32 v43, v111
	v_pk_fma_f32 v[118:119], v[100:101], v[52:53], v[116:117] op_sel:[0,0,1] op_sel_hi:[1,1,0] neg_lo:[0,0,1] neg_hi:[0,0,1]
	v_pk_fma_f32 v[52:53], v[100:101], v[52:53], v[116:117] op_sel:[0,0,1] op_sel_hi:[1,0,0]
	v_pk_fma_f32 v[100:101], v[98:99], v[46:47], v[114:115] op_sel:[0,0,1] op_sel_hi:[1,1,0] neg_lo:[0,0,1] neg_hi:[0,0,1]
	v_pk_fma_f32 v[98:99], v[98:99], v[46:47], v[114:115] op_sel:[0,0,1] op_sel_hi:[1,0,0]
	;; [unrolled: 2-line block ×3, first 2 shown]
	s_waitcnt vmcnt(4)
	v_mov_b32_e32 v30, v23
	v_pk_mul_f32 v[64:65], v[28:29], v[30:31] op_sel_hi:[1,0]
	v_mov_b32_e32 v115, v47
	v_pk_fma_f32 v[30:31], v[28:29], v[22:23], v[64:65] op_sel:[0,0,1] op_sel_hi:[1,1,0] neg_lo:[0,0,1] neg_hi:[0,0,1]
	v_pk_fma_f32 v[28:29], v[28:29], v[22:23], v[64:65] op_sel:[0,0,1] op_sel_hi:[1,0,0]
	v_pk_mul_f32 v[64:65], v[24:25], v[20:21] op_sel:[0,1]
	v_mov_b32_e32 v101, v99
	v_pk_fma_f32 v[22:23], v[24:25], v[20:21], v[64:65] op_sel:[0,0,1] op_sel_hi:[1,1,0] neg_lo:[0,0,1] neg_hi:[0,0,1]
	v_pk_fma_f32 v[64:65], v[24:25], v[20:21], v[64:65] op_sel:[0,0,1] op_sel_hi:[1,0,0]
	v_pk_mul_f32 v[20:21], v[26:27], v[56:57] op_sel_hi:[1,0]
	v_mov_b32_e32 v119, v53
	v_pk_fma_f32 v[116:117], v[26:27], v[2:3], v[20:21] op_sel:[0,0,1] op_sel_hi:[1,1,0] neg_lo:[0,0,1] neg_hi:[0,0,1]
	v_pk_fma_f32 v[120:121], v[26:27], v[2:3], v[20:21] op_sel:[0,0,1] op_sel_hi:[1,0,0]
	ds_read2_b64 v[24:27], v94 offset0:116 offset1:176
	v_mov_b32_e32 v117, v121
	v_mov_b32_e32 v23, v65
	;; [unrolled: 1-line block ×4, first 2 shown]
	s_waitcnt lgkmcnt(0)
	v_pk_mul_f32 v[20:21], v[24:25], v[0:1] op_sel:[0,1]
	v_pk_add_f32 v[60:61], v[50:51], v[38:39]
	v_pk_fma_f32 v[122:123], v[24:25], v[0:1], v[20:21] op_sel:[0,0,1] op_sel_hi:[1,1,0] neg_lo:[0,0,1] neg_hi:[0,0,1]
	v_pk_fma_f32 v[124:125], v[24:25], v[0:1], v[20:21] op_sel:[0,0,1] op_sel_hi:[1,0,0]
	s_waitcnt vmcnt(3)
	v_pk_mul_f32 v[20:21], v[26:27], v[16:17] op_sel:[0,1]
	v_mov_b32_e32 v123, v125
	v_pk_fma_f32 v[126:127], v[26:27], v[16:17], v[20:21] op_sel:[0,0,1] op_sel_hi:[1,1,0] neg_lo:[0,0,1] neg_hi:[0,0,1]
	v_pk_fma_f32 v[128:129], v[26:27], v[16:17], v[20:21] op_sel:[0,0,1] op_sel_hi:[1,0,0]
	ds_read2_b64 v[24:27], v95 offset0:92 offset1:152
	v_mov_b32_e32 v16, v19
	v_pk_add_f32 v[98:99], v[122:123], v[100:101]
	v_mov_b32_e32 v127, v129
	v_pk_add_f32 v[64:65], v[126:127], v[118:119]
	s_waitcnt lgkmcnt(0)
	v_pk_mul_f32 v[16:17], v[26:27], v[16:17] op_sel_hi:[1,0]
	v_pk_add_f32 v[66:67], v[126:127], v[118:119] neg_lo:[0,1] neg_hi:[0,1]
	v_pk_fma_f32 v[130:131], v[26:27], v[18:19], v[16:17] op_sel:[0,0,1] op_sel_hi:[1,1,0] neg_lo:[0,0,1] neg_hi:[0,0,1]
	v_pk_fma_f32 v[26:27], v[26:27], v[18:19], v[16:17] op_sel:[0,0,1] op_sel_hi:[1,0,0]
	ds_read2_b64 v[18:21], v96 offset0:124 offset1:184
	v_pk_mul_f32 v[16:17], v[24:25], v[56:57] op_sel_hi:[1,0]
	v_mov_b32_e32 v131, v27
	v_pk_fma_f32 v[132:133], v[24:25], v[2:3], v[16:17] op_sel:[0,0,1] op_sel_hi:[1,1,0] neg_lo:[0,0,1] neg_hi:[0,0,1]
	v_pk_fma_f32 v[24:25], v[24:25], v[2:3], v[16:17] op_sel:[0,0,1] op_sel_hi:[1,0,0]
	s_waitcnt lgkmcnt(0)
	v_pk_mul_f32 v[2:3], v[20:21], v[0:1] op_sel:[0,1]
	v_mov_b32_e32 v133, v25
	v_pk_fma_f32 v[134:135], v[20:21], v[0:1], v[2:3] op_sel:[0,0,1] op_sel_hi:[1,1,0] neg_lo:[0,0,1] neg_hi:[0,0,1]
	v_pk_fma_f32 v[20:21], v[20:21], v[0:1], v[2:3] op_sel:[0,0,1] op_sel_hi:[1,0,0]
	s_waitcnt vmcnt(0)
	v_mov_b32_e32 v0, v15
	v_pk_mul_f32 v[0:1], v[18:19], v[0:1] op_sel_hi:[1,0]
	v_mov_b32_e32 v135, v21
	v_pk_fma_f32 v[16:17], v[18:19], v[14:15], v[0:1] op_sel:[0,0,1] op_sel_hi:[1,1,0] neg_lo:[0,0,1] neg_hi:[0,0,1]
	v_pk_fma_f32 v[18:19], v[18:19], v[14:15], v[0:1] op_sel:[0,0,1] op_sel_hi:[1,0,0]
	ds_read2_b64 v[0:3], v81 offset0:148 offset1:208
	v_pk_add_f32 v[60:61], v[60:61], v[34:35]
	v_mov_b32_e32 v37, v113
	v_mov_b32_e32 v41, v109
	v_lshl_add_u32 v104, v57, 3, 0
	s_waitcnt lgkmcnt(0)
	v_pk_mul_f32 v[136:137], v[0:1], v[12:13] op_sel:[0,1]
	v_pk_add_f32 v[58:59], v[44:45], v[40:41]
	v_pk_fma_f32 v[14:15], v[0:1], v[12:13], v[136:137] op_sel:[0,0,1] op_sel_hi:[1,1,0] neg_lo:[0,0,1] neg_hi:[0,0,1]
	v_pk_fma_f32 v[12:13], v[0:1], v[12:13], v[136:137] op_sel:[0,0,1] op_sel_hi:[1,0,0]
	v_pk_mul_f32 v[0:1], v[6:7], v[2:3] op_sel:[0,1]
	v_pk_add_f32 v[58:59], v[58:59], v[32:33]
	v_pk_fma_f32 v[136:137], v[6:7], v[2:3], v[0:1] op_sel:[0,0,1] op_sel_hi:[1,1,0] neg_lo:[0,0,1] neg_hi:[0,0,1]
	v_pk_fma_f32 v[138:139], v[6:7], v[2:3], v[0:1] op_sel:[0,0,1] op_sel_hi:[1,0,0]
	ds_read2_b64 v[0:3], v93 offset0:164 offset1:224
	v_mov_b32_e32 v137, v139
	v_pk_add_f32 v[46:47], v[136:137], v[116:117]
	v_mov_b32_e32 v17, v19
	v_mov_b32_e32 v31, v29
	s_waitcnt lgkmcnt(0)
	v_pk_mul_f32 v[140:141], v[0:1], v[4:5] op_sel:[0,1]
	v_mov_b32_e32 v15, v13
	v_pk_fma_f32 v[142:143], v[0:1], v[4:5], v[140:141] op_sel:[0,0,1] op_sel_hi:[1,1,0] neg_lo:[0,0,1] neg_hi:[0,0,1]
	v_pk_fma_f32 v[140:141], v[0:1], v[4:5], v[140:141] op_sel:[0,0,1] op_sel_hi:[1,0,0]
	v_pk_mul_f32 v[0:1], v[2:3], v[8:9] op_sel:[0,1]
	v_mov_b32_e32 v143, v141
	v_pk_fma_f32 v[144:145], v[2:3], v[8:9], v[0:1] op_sel:[0,0,1] op_sel_hi:[1,1,0] neg_lo:[0,0,1] neg_hi:[0,0,1]
	v_pk_fma_f32 v[8:9], v[2:3], v[8:9], v[0:1] op_sel:[0,0,1] op_sel_hi:[1,0,0]
	ds_read2_b64 v[0:3], v83 offset0:12 offset1:72
	v_mov_b32_e32 v8, v11
	v_pk_add_f32 v[24:25], v[142:143], v[122:123]
	v_pk_fma_f32 v[98:99], v[98:99], 0.5, v[142:143] op_sel_hi:[1,0,1] neg_lo:[1,0,0] neg_hi:[1,0,0]
	v_pk_add_f32 v[24:25], v[24:25], v[100:101]
	s_waitcnt lgkmcnt(0)
	v_pk_mul_f32 v[146:147], v[2:3], v[8:9] op_sel_hi:[1,0]
	v_pk_add_f32 v[100:101], v[122:123], v[100:101] neg_lo:[0,1] neg_hi:[0,1]
	v_pk_fma_f32 v[148:149], v[2:3], v[10:11], v[146:147] op_sel:[0,0,1] op_sel_hi:[1,1,0] neg_lo:[0,0,1] neg_hi:[0,0,1]
	v_pk_fma_f32 v[10:11], v[2:3], v[10:11], v[146:147] op_sel:[0,0,1] op_sel_hi:[1,0,0]
	v_mov_b32_e32 v2, v7
	v_pk_mul_f32 v[2:3], v[0:1], v[2:3] op_sel_hi:[1,0]
	v_mov_b32_e32 v149, v11
	v_pk_fma_f32 v[146:147], v[0:1], v[6:7], v[2:3] op_sel:[0,0,1] op_sel_hi:[1,1,0] neg_lo:[0,0,1] neg_hi:[0,0,1]
	v_pk_fma_f32 v[150:151], v[0:1], v[6:7], v[2:3] op_sel:[0,0,1] op_sel_hi:[1,0,0]
	ds_read2_b64 v[0:3], v93 offset0:44 offset1:104
	v_mov_b32_e32 v147, v151
	v_pk_add_f32 v[122:123], v[146:147], v[132:133] neg_lo:[0,1] neg_hi:[0,1]
	v_mov_b32_e32 v145, v9
	v_pk_mul_f32 v[122:123], v[122:123], s[2:3] op_sel_hi:[1,0]
	s_waitcnt lgkmcnt(0)
	v_pk_mul_f32 v[6:7], v[4:5], v[2:3] op_sel:[0,1]
	v_pk_fma_f32 v[64:65], v[64:65], 0.5, v[144:145] op_sel_hi:[1,0,1] neg_lo:[1,0,0] neg_hi:[1,0,0]
	v_pk_fma_f32 v[152:153], v[4:5], v[2:3], v[6:7] op_sel:[0,0,1] op_sel_hi:[1,1,0] neg_lo:[0,0,1] neg_hi:[0,0,1]
	v_pk_fma_f32 v[4:5], v[4:5], v[2:3], v[6:7] op_sel:[0,0,1] op_sel_hi:[1,0,0]
	global_load_dwordx2 v[6:7], v97, s[4:5] offset:432
	v_mov_b32_e32 v153, v5
	v_pk_add_f32 v[120:121], v[152:153], v[134:135]
	v_lshl_add_u32 v97, v69, 3, 0
	v_pk_add_f32 v[120:121], v[120:121], v[114:115]
	v_pk_fma_f32 v[68:69], v[66:67], s[2:3], v[64:65] op_sel:[0,0,1] op_sel_hi:[1,0,0]
	v_pk_fma_f32 v[64:65], v[66:67], s[2:3], v[64:65] op_sel:[0,0,1] op_sel_hi:[1,0,0] neg_lo:[1,0,0] neg_hi:[1,0,0]
	v_mov_b32_e32 v66, v68
	v_mov_b32_e32 v67, v65
	v_pk_add_f32 v[12:13], v[0:1], v[16:17]
	v_pk_add_f32 v[18:19], v[14:15], v[22:23]
	;; [unrolled: 1-line block ×3, first 2 shown]
	s_waitcnt vmcnt(0)
	v_pk_mul_f32 v[156:157], v[154:155], v[6:7] op_sel:[0,1]
	s_nop 0
	v_pk_fma_f32 v[2:3], v[154:155], v[6:7], v[156:157] op_sel:[0,0,1] op_sel_hi:[1,1,0] neg_lo:[0,0,1] neg_hi:[0,0,1]
	v_pk_fma_f32 v[154:155], v[154:155], v[6:7], v[156:157] op_sel:[0,0,1] op_sel_hi:[1,0,0]
	ds_read2_b64 v[4:7], v90 offset1:240
	s_waitcnt lgkmcnt(0)
	v_pk_add_f32 v[20:21], v[4:5], v[136:137]
	s_nop 0
	v_pk_add_f32 v[20:21], v[20:21], v[116:117]
	v_pk_add_f32 v[116:117], v[136:137], v[116:117] neg_lo:[0,1] neg_hi:[0,1]
	v_pk_fma_f32 v[4:5], v[46:47], 0.5, v[4:5] op_sel_hi:[1,0,1] neg_lo:[1,0,0] neg_hi:[1,0,0]
	v_pk_mul_f32 v[46:47], v[116:117], s[2:3] op_sel_hi:[1,0]
	v_pk_add_f32 v[156:157], v[20:21], v[120:121]
	v_pk_add_f32 v[116:117], v[46:47], v[4:5] op_sel:[1,0] op_sel_hi:[0,1]
	v_pk_add_f32 v[4:5], v[4:5], v[46:47] op_sel:[0,1] op_sel_hi:[1,0] neg_lo:[0,1] neg_hi:[0,1]
	v_pk_add_f32 v[46:47], v[134:135], v[114:115]
	v_pk_add_f32 v[114:115], v[134:135], v[114:115] neg_lo:[0,1] neg_hi:[0,1]
	v_pk_fma_f32 v[46:47], v[46:47], 0.5, v[152:153] op_sel_hi:[1,0,1] neg_lo:[1,0,0] neg_hi:[1,0,0]
	ds_read_b64 v[136:137], v77
	ds_read_b64 v[138:139], v78
	ds_read_b64 v[152:153], v76
	v_pk_fma_f32 v[134:135], v[114:115], s[2:3], v[46:47] op_sel:[0,0,1] op_sel_hi:[1,0,0]
	v_pk_fma_f32 v[46:47], v[114:115], s[2:3], v[46:47] op_sel:[0,0,1] op_sel_hi:[1,0,0] neg_lo:[1,0,0] neg_hi:[1,0,0]
	v_mul_f32_e32 v8, 0xbf5db3d7, v135
	v_mul_f32_e32 v3, 0x3f5db3d7, v46
	v_fmac_f32_e32 v3, 0.5, v135
	v_fmac_f32_e32 v8, 0.5, v46
	v_add_f32_e32 v114, v116, v3
	v_add_f32_e32 v115, v5, v8
	v_mov_b32_e32 v46, v134
	s_waitcnt lgkmcnt(0)
	; wave barrier
	s_waitcnt lgkmcnt(0)
	ds_write2_b64 v90, v[156:157], v[114:115] offset1:60
	v_sub_f32_e32 v114, v116, v3
	v_sub_f32_e32 v115, v5, v8
	v_mov_b32_e32 v116, v4
	v_pk_mul_f32 v[4:5], v[46:47], 0.5 op_sel_hi:[1,0]
	v_pk_add_f32 v[20:21], v[20:21], v[120:121] neg_lo:[0,1] neg_hi:[0,1]
	v_pk_fma_f32 v[4:5], v[46:47], s[2:3], v[4:5] op_sel:[0,0,1] op_sel_hi:[1,1,0] neg_lo:[0,0,1] neg_hi:[0,0,1]
	v_pk_add_f32 v[120:121], v[138:139], v[146:147]
	v_pk_add_f32 v[46:47], v[116:117], v[4:5]
	v_pk_add_f32 v[4:5], v[116:117], v[4:5] neg_lo:[0,1] neg_hi:[0,1]
	v_pk_add_f32 v[116:117], v[146:147], v[132:133]
	v_pk_add_f32 v[120:121], v[120:121], v[132:133]
	v_pk_fma_f32 v[116:117], v[116:117], 0.5, v[138:139] op_sel_hi:[1,0,1] neg_lo:[1,0,0] neg_hi:[1,0,0]
	ds_write2_b64 v90, v[46:47], v[20:21] offset0:120 offset1:180
	v_pk_add_f32 v[124:125], v[122:123], v[116:117] op_sel:[1,0] op_sel_hi:[0,1]
	v_pk_add_f32 v[116:117], v[116:117], v[122:123] op_sel:[0,1] op_sel_hi:[1,0] neg_lo:[0,1] neg_hi:[0,1]
	v_pk_fma_f32 v[122:123], v[100:101], s[2:3], v[98:99] op_sel:[0,0,1] op_sel_hi:[1,0,0]
	v_pk_fma_f32 v[98:99], v[100:101], s[2:3], v[98:99] op_sel:[0,0,1] op_sel_hi:[1,0,0] neg_lo:[1,0,0] neg_hi:[1,0,0]
	v_mul_f32_e32 v8, 0xbf5db3d7, v123
	v_mul_f32_e32 v3, 0x3f5db3d7, v98
	v_fmac_f32_e32 v3, 0.5, v123
	v_fmac_f32_e32 v8, 0.5, v98
	v_mov_b32_e32 v98, v122
	v_add_f32_e32 v100, v124, v3
	v_add_f32_e32 v101, v117, v8
	v_sub_f32_e32 v132, v124, v3
	v_sub_f32_e32 v133, v117, v8
	v_mov_b32_e32 v124, v116
	v_pk_mul_f32 v[116:117], v[98:99], 0.5 op_sel_hi:[1,0]
	v_pk_add_f32 v[52:53], v[136:137], v[148:149]
	v_pk_fma_f32 v[98:99], v[98:99], s[2:3], v[116:117] op_sel:[0,0,1] op_sel_hi:[1,1,0] neg_lo:[0,0,1] neg_hi:[0,0,1]
	v_pk_add_f32 v[116:117], v[120:121], v[24:25]
	v_pk_add_f32 v[24:25], v[120:121], v[24:25] neg_lo:[0,1] neg_hi:[0,1]
	v_pk_add_f32 v[120:121], v[124:125], v[98:99]
	ds_write2_b64 v91, v[114:115], v[4:5] offset0:112 offset1:172
	ds_write2_b64 v93, v[116:117], v[100:101] offset0:104 offset1:164
	v_add_u32_e32 v4, 0xc00, v90
	v_pk_add_f32 v[98:99], v[124:125], v[98:99] neg_lo:[0,1] neg_hi:[0,1]
	ds_write2_b64 v4, v[120:121], v[24:25] offset0:96 offset1:156
	ds_write2_b64 v81, v[132:133], v[98:99] offset0:88 offset1:148
	v_pk_add_f32 v[4:5], v[148:149], v[130:131]
	v_pk_add_f32 v[24:25], v[148:149], v[130:131] neg_lo:[0,1] neg_hi:[0,1]
	v_pk_fma_f32 v[4:5], v[4:5], 0.5, v[136:137] op_sel_hi:[1,0,1] neg_lo:[1,0,0] neg_hi:[1,0,0]
	v_pk_mul_f32 v[24:25], v[24:25], s[2:3] op_sel_hi:[1,0]
	v_pk_add_f32 v[20:21], v[144:145], v[126:127]
	v_pk_add_f32 v[62:63], v[24:25], v[4:5] op_sel:[1,0] op_sel_hi:[0,1]
	v_pk_add_f32 v[4:5], v[4:5], v[24:25] op_sel:[0,1] op_sel_hi:[1,0] neg_lo:[0,1] neg_hi:[0,1]
	v_mov_b32_e32 v25, v63
	v_mov_b32_e32 v24, v4
	v_mul_f32_e32 v4, 0x3f5db3d7, v64
	v_mul_f32_e32 v63, 0xbf5db3d7, v69
	v_pk_add_f32 v[52:53], v[52:53], v[130:131]
	v_pk_add_f32 v[20:21], v[20:21], v[118:119]
	v_fmac_f32_e32 v4, 0.5, v69
	v_fmac_f32_e32 v63, 0.5, v64
	v_pk_mul_f32 v[64:65], v[66:67], 0.5 op_sel_hi:[1,0]
	v_pk_add_f32 v[46:47], v[52:53], v[20:21]
	v_add_f32_e32 v68, v62, v4
	v_add_f32_e32 v69, v5, v63
	v_pk_fma_f32 v[64:65], v[66:67], s[2:3], v[64:65] op_sel:[0,0,1] op_sel_hi:[1,1,0] neg_lo:[0,0,1] neg_hi:[0,0,1]
	v_sub_f32_e32 v4, v62, v4
	v_add_u32_e32 v62, 0x1400, v97
	v_pk_add_f32 v[66:67], v[24:25], v[64:65]
	ds_write2_b64 v62, v[46:47], v[68:69] offset0:80 offset1:140
	v_pk_add_f32 v[20:21], v[52:53], v[20:21] neg_lo:[0,1] neg_hi:[0,1]
	v_add_u32_e32 v46, 0x1800, v97
	v_pk_add_f32 v[10:11], v[152:153], v[54:55]
	v_sub_f32_e32 v5, v5, v63
	ds_write2_b64 v46, v[66:67], v[20:21] offset0:72 offset1:132
	v_pk_add_f32 v[20:21], v[24:25], v[64:65] neg_lo:[0,1] neg_hi:[0,1]
	v_pk_add_f32 v[10:11], v[10:11], v[42:43]
	ds_write2_b64 v46, v[4:5], v[20:21] offset0:192 offset1:252
	v_pk_add_f32 v[4:5], v[54:55], v[42:43]
	v_pk_add_f32 v[20:21], v[54:55], v[42:43] neg_lo:[0,1] neg_hi:[0,1]
	v_pk_add_f32 v[42:43], v[38:39], v[34:35]
	v_pk_fma_f32 v[4:5], v[4:5], 0.5, v[152:153] op_sel_hi:[1,0,1] neg_lo:[1,0,0] neg_hi:[1,0,0]
	v_pk_mul_f32 v[20:21], v[20:21], s[2:3] op_sel_hi:[1,0]
	v_pk_fma_f32 v[42:43], v[42:43], 0.5, v[50:51] op_sel_hi:[1,0,1] neg_lo:[1,0,0] neg_hi:[1,0,0]
	v_pk_add_f32 v[34:35], v[38:39], v[34:35] neg_lo:[0,1] neg_hi:[0,1]
	v_pk_add_f32 v[24:25], v[20:21], v[4:5] op_sel:[1,0] op_sel_hi:[0,1]
	v_pk_fma_f32 v[38:39], v[34:35], s[2:3], v[42:43] op_sel:[0,0,1] op_sel_hi:[1,0,0]
	v_pk_fma_f32 v[34:35], v[34:35], s[2:3], v[42:43] op_sel:[0,0,1] op_sel_hi:[1,0,0] neg_lo:[1,0,0] neg_hi:[1,0,0]
	v_pk_add_f32 v[4:5], v[4:5], v[20:21] op_sel:[0,1] op_sel_hi:[1,0] neg_lo:[0,1] neg_hi:[0,1]
	v_mov_b32_e32 v21, v25
	v_mov_b32_e32 v42, v38
	;; [unrolled: 1-line block ×3, first 2 shown]
	v_mul_f32_e32 v25, 0xbf5db3d7, v39
	v_mov_b32_e32 v20, v4
	v_mul_f32_e32 v4, 0x3f5db3d7, v34
	v_fmac_f32_e32 v25, 0.5, v34
	v_pk_mul_f32 v[34:35], v[42:43], 0.5 op_sel_hi:[1,0]
	v_fmac_f32_e32 v4, 0.5, v39
	v_pk_fma_f32 v[34:35], v[42:43], s[2:3], v[34:35] op_sel:[0,0,1] op_sel_hi:[1,1,0] neg_lo:[0,0,1] neg_hi:[0,0,1]
	v_pk_add_f32 v[26:27], v[10:11], v[60:61]
	v_add_f32_e32 v38, v24, v4
	v_pk_add_f32 v[42:43], v[20:21], v[34:35]
	v_sub_f32_e32 v4, v24, v4
	v_add_u32_e32 v24, 0x2000, v102
	v_pk_add_f32 v[10:11], v[10:11], v[60:61] neg_lo:[0,1] neg_hi:[0,1]
	v_add_f32_e32 v39, v5, v25
	v_sub_f32_e32 v5, v5, v25
	ds_write2_b64 v24, v[42:43], v[10:11] offset0:176 offset1:236
	v_pk_add_f32 v[10:11], v[20:21], v[34:35] neg_lo:[0,1] neg_hi:[0,1]
	v_add_u32_e32 v20, 0x2800, v102
	ds_write2_b64 v20, v[4:5], v[10:11] offset0:40 offset1:100
	v_pk_add_f32 v[4:5], v[48:49], v[36:37]
	v_pk_add_f32 v[56:57], v[6:7], v[48:49]
	v_pk_fma_f32 v[4:5], v[4:5], 0.5, v[6:7] op_sel_hi:[1,0,1] neg_lo:[1,0,0] neg_hi:[1,0,0]
	v_pk_add_f32 v[6:7], v[48:49], v[36:37] neg_lo:[0,1] neg_hi:[0,1]
	v_pk_add_f32 v[20:21], v[40:41], v[32:33]
	ds_write2_b64 v24, v[26:27], v[38:39] offset0:56 offset1:116
	v_pk_mul_f32 v[6:7], v[6:7], s[2:3] op_sel_hi:[1,0]
	v_pk_fma_f32 v[20:21], v[20:21], 0.5, v[44:45] op_sel_hi:[1,0,1] neg_lo:[1,0,0] neg_hi:[1,0,0]
	v_pk_add_f32 v[24:25], v[40:41], v[32:33] neg_lo:[0,1] neg_hi:[0,1]
	v_pk_add_f32 v[10:11], v[6:7], v[4:5] op_sel:[1,0] op_sel_hi:[0,1]
	v_pk_add_f32 v[4:5], v[4:5], v[6:7] op_sel:[0,1] op_sel_hi:[1,0] neg_lo:[0,1] neg_hi:[0,1]
	v_pk_fma_f32 v[26:27], v[24:25], s[2:3], v[20:21] op_sel:[0,0,1] op_sel_hi:[1,0,0]
	v_pk_fma_f32 v[20:21], v[24:25], s[2:3], v[20:21] op_sel:[0,0,1] op_sel_hi:[1,0,0] neg_lo:[1,0,0] neg_hi:[1,0,0]
	v_mov_b32_e32 v6, v4
	v_mov_b32_e32 v7, v11
	;; [unrolled: 1-line block ×4, first 2 shown]
	v_mul_f32_e32 v4, 0x3f5db3d7, v20
	v_mul_f32_e32 v11, 0xbf5db3d7, v27
	v_pk_add_f32 v[56:57], v[56:57], v[36:37]
	v_fmac_f32_e32 v4, 0.5, v27
	v_fmac_f32_e32 v11, 0.5, v20
	v_pk_mul_f32 v[20:21], v[24:25], 0.5 op_sel_hi:[1,0]
	v_pk_add_f32 v[8:9], v[56:57], v[58:59]
	v_add_f32_e32 v26, v10, v4
	v_add_f32_e32 v27, v5, v11
	v_pk_fma_f32 v[20:21], v[24:25], s[2:3], v[20:21] op_sel:[0,0,1] op_sel_hi:[1,1,0] neg_lo:[0,0,1] neg_hi:[0,0,1]
	v_sub_f32_e32 v4, v10, v4
	v_add_u32_e32 v10, 0x2800, v104
	v_pk_add_f32 v[24:25], v[6:7], v[20:21]
	v_sub_f32_e32 v5, v5, v11
	ds_write2_b64 v10, v[8:9], v[26:27] offset0:160 offset1:220
	v_add_u32_e32 v10, 0x3000, v104
	v_pk_add_f32 v[6:7], v[6:7], v[20:21] neg_lo:[0,1] neg_hi:[0,1]
	v_mov_b32_e32 v3, v155
	v_pk_add_f32 v[8:9], v[56:57], v[58:59] neg_lo:[0,1] neg_hi:[0,1]
	ds_write2_b64 v10, v[4:5], v[6:7] offset0:144 offset1:204
	v_pk_add_f32 v[4:5], v[16:17], v[30:31]
	ds_write2_b64 v10, v[24:25], v[8:9] offset0:24 offset1:84
	v_pk_fma_f32 v[0:1], v[4:5], 0.5, v[0:1] op_sel_hi:[1,0,1] neg_lo:[1,0,0] neg_hi:[1,0,0]
	v_pk_add_f32 v[4:5], v[16:17], v[30:31] neg_lo:[0,1] neg_hi:[0,1]
	v_pk_add_f32 v[8:9], v[22:23], v[2:3]
	v_pk_add_f32 v[18:19], v[18:19], v[2:3]
	v_pk_mul_f32 v[4:5], v[4:5], s[2:3] op_sel_hi:[1,0]
	v_pk_fma_f32 v[8:9], v[8:9], 0.5, v[14:15] op_sel_hi:[1,0,1] neg_lo:[1,0,0] neg_hi:[1,0,0]
	v_pk_add_f32 v[2:3], v[22:23], v[2:3] neg_lo:[0,1] neg_hi:[0,1]
	v_pk_add_f32 v[6:7], v[4:5], v[0:1] op_sel:[1,0] op_sel_hi:[0,1]
	v_pk_fma_f32 v[10:11], v[2:3], s[2:3], v[8:9] op_sel:[0,0,1] op_sel_hi:[1,0,0]
	v_pk_fma_f32 v[2:3], v[2:3], s[2:3], v[8:9] op_sel:[0,0,1] op_sel_hi:[1,0,0] neg_lo:[1,0,0] neg_hi:[1,0,0]
	v_pk_add_f32 v[0:1], v[0:1], v[4:5] op_sel:[0,1] op_sel_hi:[1,0] neg_lo:[0,1] neg_hi:[0,1]
	v_mov_b32_e32 v5, v7
	v_mov_b32_e32 v8, v10
	;; [unrolled: 1-line block ×3, first 2 shown]
	v_mul_f32_e32 v7, 0xbf5db3d7, v11
	v_mov_b32_e32 v4, v0
	v_mul_f32_e32 v0, 0x3f5db3d7, v2
	v_fmac_f32_e32 v7, 0.5, v2
	v_pk_mul_f32 v[2:3], v[8:9], 0.5 op_sel_hi:[1,0]
	v_fmac_f32_e32 v0, 0.5, v11
	v_pk_fma_f32 v[2:3], v[8:9], s[2:3], v[2:3] op_sel:[0,0,1] op_sel_hi:[1,1,0] neg_lo:[0,0,1] neg_hi:[0,0,1]
	v_mul_i32_i24_e32 v56, 5, v82
	v_mov_b32_e32 v57, 0
	v_add_f32_e32 v10, v6, v0
	v_add_f32_e32 v11, v1, v7
	v_pk_add_f32 v[8:9], v[4:5], v[2:3]
	v_sub_f32_e32 v0, v6, v0
	v_sub_f32_e32 v1, v1, v7
	v_pk_add_f32 v[2:3], v[4:5], v[2:3] neg_lo:[0,1] neg_hi:[0,1]
	v_add_u32_e32 v4, 0x3c00, v73
	v_lshl_add_u64 v[60:61], v[56:57], 3, s[4:5]
	v_mul_i32_i24_e32 v56, 5, v88
	ds_write2_b64 v4, v[0:1], v[2:3] offset0:120 offset1:180
	v_lshl_add_u64 v[66:67], v[56:57], 3, s[4:5]
	v_mul_i32_i24_e32 v56, 5, v86
	v_mul_u32_u24_e32 v0, 5, v70
	v_pk_add_f32 v[28:29], v[12:13], v[18:19]
	v_add_u32_e32 v14, 0x3800, v73
	v_pk_add_f32 v[6:7], v[12:13], v[18:19] neg_lo:[0,1] neg_hi:[0,1]
	v_lshl_add_u64 v[68:69], v[56:57], 3, s[4:5]
	v_lshlrev_b32_e32 v56, 3, v0
	ds_write2_b64 v14, v[28:29], v[10:11] offset0:8 offset1:68
	ds_write2_b64 v14, v[8:9], v[6:7] offset0:128 offset1:188
	s_waitcnt lgkmcnt(0)
	; wave barrier
	s_waitcnt lgkmcnt(0)
	global_load_dwordx4 v[98:101], v56, s[4:5] offset:2800
	global_load_dwordx4 v[32:35], v56, s[4:5] offset:2816
	global_load_dwordx4 v[28:31], v[68:69], off offset:2800
	global_load_dwordx4 v[24:27], v[68:69], off offset:2816
	;; [unrolled: 1-line block ×6, first 2 shown]
	global_load_dwordx2 v[62:63], v79, s[4:5] offset:2832
	v_lshl_add_u64 v[0:1], s[4:5], 0, v[56:57]
	v_lshl_add_u64 v[64:65], v[0:1], 0, s[6:7]
	global_load_dwordx4 v[8:11], v[64:65], off offset:16
	v_add_co_u32_e32 v0, vcc, s9, v0
	s_nop 1
	v_addc_co_u32_e32 v1, vcc, 0, v1, vcc
	global_load_dwordx4 v[0:3], v[0:1], off offset:1104
	ds_read2_b64 v[52:55], v81 offset0:28 offset1:88
	ds_read2_b64 v[36:39], v72 offset0:76 offset1:136
	ds_read2_b64 v[48:51], v83 offset0:132 offset1:192
	ds_read2_b64 v[44:47], v71 offset0:108 offset1:168
	ds_read2_b64 v[40:43], v87 offset0:84 offset1:144
	global_load_dwordx2 v[106:107], v56, s[4:5] offset:2832
	global_load_dwordx2 v[112:113], v[66:67], off offset:2832
	v_cmp_ne_u32_e32 vcc, 0, v80
	s_waitcnt vmcnt(12) lgkmcnt(4)
	v_pk_mul_f32 v[70:71], v[54:55], v[98:99] op_sel:[0,1]
	s_nop 0
	v_pk_fma_f32 v[58:59], v[54:55], v[98:99], v[70:71] op_sel:[0,0,1] op_sel_hi:[1,1,0] neg_lo:[0,0,1] neg_hi:[0,0,1]
	v_pk_fma_f32 v[70:71], v[54:55], v[98:99], v[70:71] op_sel:[0,0,1] op_sel_hi:[1,0,0]
	v_mov_b32_e32 v54, v101
	s_waitcnt lgkmcnt(2)
	v_pk_mul_f32 v[72:73], v[50:51], v[54:55] op_sel_hi:[1,0]
	s_waitcnt vmcnt(11) lgkmcnt(1)
	v_pk_mul_f32 v[98:99], v[46:47], v[32:33] op_sel:[0,1]
	v_pk_fma_f32 v[54:55], v[50:51], v[100:101], v[72:73] op_sel:[0,0,1] op_sel_hi:[1,1,0] neg_lo:[0,0,1] neg_hi:[0,0,1]
	v_pk_fma_f32 v[50:51], v[50:51], v[100:101], v[72:73] op_sel:[0,0,1] op_sel_hi:[1,0,0]
	v_pk_fma_f32 v[72:73], v[46:47], v[32:33], v[98:99] op_sel:[0,0,1] op_sel_hi:[1,1,0] neg_lo:[0,0,1] neg_hi:[0,0,1]
	v_pk_fma_f32 v[108:109], v[46:47], v[32:33], v[98:99] op_sel:[0,0,1] op_sel_hi:[1,0,0]
	v_mov_b32_e32 v32, v35
	s_waitcnt lgkmcnt(0)
	v_pk_mul_f32 v[46:47], v[42:43], v[32:33] op_sel_hi:[1,0]
	v_mov_b32_e32 v55, v51
	v_pk_fma_f32 v[32:33], v[42:43], v[34:35], v[46:47] op_sel:[0,0,1] op_sel_hi:[1,1,0] neg_lo:[0,0,1] neg_hi:[0,0,1]
	v_pk_fma_f32 v[110:111], v[42:43], v[34:35], v[46:47] op_sel:[0,0,1] op_sel_hi:[1,0,0]
	s_waitcnt vmcnt(10)
	v_pk_mul_f32 v[42:43], v[52:53], v[28:29] op_sel:[0,1]
	s_waitcnt vmcnt(9)
	v_pk_mul_f32 v[46:47], v[44:45], v[24:25] op_sel:[0,1]
	v_pk_fma_f32 v[34:35], v[52:53], v[28:29], v[42:43] op_sel:[0,0,1] op_sel_hi:[1,1,0] neg_lo:[0,0,1] neg_hi:[0,0,1]
	v_pk_fma_f32 v[52:53], v[52:53], v[28:29], v[42:43] op_sel:[0,0,1] op_sel_hi:[1,0,0]
	v_mov_b32_e32 v28, v31
	v_pk_mul_f32 v[28:29], v[48:49], v[28:29] op_sel_hi:[1,0]
	v_pk_fma_f32 v[114:115], v[44:45], v[24:25], v[46:47] op_sel:[0,0,1] op_sel_hi:[1,0,0]
	v_pk_fma_f32 v[42:43], v[48:49], v[30:31], v[28:29] op_sel:[0,0,1] op_sel_hi:[1,1,0] neg_lo:[0,0,1] neg_hi:[0,0,1]
	v_pk_fma_f32 v[30:31], v[48:49], v[30:31], v[28:29] op_sel:[0,0,1] op_sel_hi:[1,0,0]
	global_load_dwordx2 v[48:49], v[68:69], off offset:2832
	v_pk_fma_f32 v[28:29], v[44:45], v[24:25], v[46:47] op_sel:[0,0,1] op_sel_hi:[1,1,0] neg_lo:[0,0,1] neg_hi:[0,0,1]
	ds_read2_b64 v[44:47], v93 offset0:164 offset1:224
	v_mov_b32_e32 v24, v27
	v_pk_mul_f32 v[66:67], v[40:41], v[24:25] op_sel_hi:[1,0]
	v_mov_b32_e32 v59, v71
	v_pk_fma_f32 v[24:25], v[40:41], v[26:27], v[66:67] op_sel:[0,0,1] op_sel_hi:[1,1,0] neg_lo:[0,0,1] neg_hi:[0,0,1]
	v_pk_fma_f32 v[26:27], v[40:41], v[26:27], v[66:67] op_sel:[0,0,1] op_sel_hi:[1,0,0]
	ds_read2_b64 v[66:69], v83 offset0:12 offset1:72
	ds_read2_b64 v[98:101], v94 offset0:116 offset1:176
	;; [unrolled: 1-line block ×3, first 2 shown]
	s_waitcnt vmcnt(9) lgkmcnt(3)
	v_pk_mul_f32 v[40:41], v[46:47], v[20:21] op_sel:[0,1]
	global_load_dwordx2 v[60:61], v[60:61], off offset:2832
	v_pk_fma_f32 v[94:95], v[46:47], v[20:21], v[40:41] op_sel:[0,0,1] op_sel_hi:[1,1,0] neg_lo:[0,0,1] neg_hi:[0,0,1]
	v_pk_fma_f32 v[20:21], v[46:47], v[20:21], v[40:41] op_sel:[0,0,1] op_sel_hi:[1,0,0]
	v_mov_b32_e32 v33, v111
	v_mov_b32_e32 v20, v23
	s_waitcnt lgkmcnt(2)
	v_pk_mul_f32 v[40:41], v[68:69], v[20:21] op_sel_hi:[1,0]
	v_mov_b32_e32 v73, v109
	v_pk_fma_f32 v[46:47], v[68:69], v[22:23], v[40:41] op_sel:[0,0,1] op_sel_hi:[1,1,0] neg_lo:[0,0,1] neg_hi:[0,0,1]
	v_pk_fma_f32 v[22:23], v[68:69], v[22:23], v[40:41] op_sel:[0,0,1] op_sel_hi:[1,0,0]
	s_waitcnt vmcnt(9)
	v_pk_mul_f32 v[40:41], v[44:45], v[16:17] op_sel:[0,1]
	v_mov_b32_e32 v35, v53
	v_pk_fma_f32 v[68:69], v[44:45], v[16:17], v[40:41] op_sel:[0,0,1] op_sel_hi:[1,1,0] neg_lo:[0,0,1] neg_hi:[0,0,1]
	v_pk_fma_f32 v[40:41], v[44:45], v[16:17], v[40:41] op_sel:[0,0,1] op_sel_hi:[1,0,0]
	v_mov_b32_e32 v16, v19
	v_pk_mul_f32 v[16:17], v[66:67], v[16:17] op_sel_hi:[1,0]
	v_mov_b32_e32 v43, v31
	v_pk_fma_f32 v[44:45], v[66:67], v[18:19], v[16:17] op_sel:[0,0,1] op_sel_hi:[1,1,0] neg_lo:[0,0,1] neg_hi:[0,0,1]
	v_pk_fma_f32 v[66:67], v[66:67], v[18:19], v[16:17] op_sel:[0,0,1] op_sel_hi:[1,0,0]
	s_waitcnt vmcnt(8) lgkmcnt(1)
	v_pk_mul_f32 v[16:17], v[100:101], v[12:13] op_sel:[0,1]
	v_mov_b32_e32 v47, v23
	v_pk_fma_f32 v[116:117], v[100:101], v[12:13], v[16:17] op_sel:[0,0,1] op_sel_hi:[1,1,0] neg_lo:[0,0,1] neg_hi:[0,0,1]
	v_pk_fma_f32 v[100:101], v[100:101], v[12:13], v[16:17] op_sel:[0,0,1] op_sel_hi:[1,0,0]
	v_mov_b32_e32 v12, v15
	s_waitcnt lgkmcnt(0)
	v_pk_mul_f32 v[12:13], v[104:105], v[12:13] op_sel_hi:[1,0]
	v_mov_b32_e32 v25, v27
	v_pk_fma_f32 v[118:119], v[104:105], v[14:15], v[12:13] op_sel:[0,0,1] op_sel_hi:[1,1,0] neg_lo:[0,0,1] neg_hi:[0,0,1]
	v_pk_fma_f32 v[104:105], v[104:105], v[14:15], v[12:13] op_sel:[0,0,1] op_sel_hi:[1,0,0]
	s_waitcnt vmcnt(7)
	v_pk_mul_f32 v[12:13], v[98:99], v[4:5] op_sel:[0,1]
	v_mov_b32_e32 v95, v21
	v_pk_fma_f32 v[120:121], v[98:99], v[4:5], v[12:13] op_sel:[0,0,1] op_sel_hi:[1,1,0] neg_lo:[0,0,1] neg_hi:[0,0,1]
	v_pk_fma_f32 v[98:99], v[98:99], v[4:5], v[12:13] op_sel:[0,0,1] op_sel_hi:[1,0,0]
	v_mov_b32_e32 v4, v7
	ds_read2_b64 v[12:15], v89 offset0:100 offset1:160
	v_pk_mul_f32 v[4:5], v[102:103], v[4:5] op_sel_hi:[1,0]
	v_mov_b32_e32 v69, v41
	v_pk_fma_f32 v[122:123], v[102:103], v[6:7], v[4:5] op_sel:[0,0,1] op_sel_hi:[1,1,0] neg_lo:[0,0,1] neg_hi:[0,0,1]
	v_pk_fma_f32 v[102:103], v[102:103], v[6:7], v[4:5] op_sel:[0,0,1] op_sel_hi:[1,0,0]
	s_waitcnt vmcnt(6)
	v_pk_mul_f32 v[4:5], v[38:39], v[62:63] op_sel:[0,1]
	v_mov_b32_e32 v45, v67
	v_pk_fma_f32 v[124:125], v[38:39], v[62:63], v[4:5] op_sel:[0,0,1] op_sel_hi:[1,1,0] neg_lo:[0,0,1] neg_hi:[0,0,1]
	v_pk_fma_f32 v[38:39], v[38:39], v[62:63], v[4:5] op_sel:[0,0,1] op_sel_hi:[1,0,0]
	global_load_dwordx2 v[62:63], v[64:65], off offset:32
	s_waitcnt vmcnt(6)
	v_mov_b32_e32 v4, v11
	v_pk_mul_f32 v[4:5], v[36:37], v[4:5] op_sel_hi:[1,0]
	v_mov_b32_e32 v125, v39
	v_pk_fma_f32 v[6:7], v[36:37], v[10:11], v[4:5] op_sel:[0,0,1] op_sel_hi:[1,1,0] neg_lo:[0,0,1] neg_hi:[0,0,1]
	v_pk_fma_f32 v[36:37], v[36:37], v[10:11], v[4:5] op_sel:[0,0,1] op_sel_hi:[1,0,0]
	s_waitcnt lgkmcnt(0)
	v_pk_mul_f32 v[10:11], v[12:13], v[8:9] op_sel:[0,1]
	v_mov_b32_e32 v7, v37
	v_pk_fma_f32 v[4:5], v[12:13], v[8:9], v[10:11] op_sel:[0,0,1] op_sel_hi:[1,1,0] neg_lo:[0,0,1] neg_hi:[0,0,1]
	v_pk_fma_f32 v[64:65], v[12:13], v[8:9], v[10:11] op_sel:[0,0,1] op_sel_hi:[1,0,0]
	global_load_dwordx4 v[8:11], v79, s[4:5] offset:2816
	global_load_dwordx4 v[16:19], v79, s[4:5] offset:2800
	v_mov_b32_e32 v5, v65
	v_mov_b32_e32 v121, v99
	;; [unrolled: 1-line block ×4, first 2 shown]
	v_pk_add_f32 v[104:105], v[68:69], v[120:121]
	v_mov_b32_e32 v117, v101
	v_pk_add_f32 v[98:99], v[94:95], v[116:117]
	v_mov_b32_e32 v29, v115
	s_waitcnt vmcnt(1)
	v_mov_b32_e32 v12, v11
	v_pk_mul_f32 v[12:13], v[14:15], v[12:13] op_sel_hi:[1,0]
	s_nop 0
	v_pk_fma_f32 v[126:127], v[14:15], v[10:11], v[12:13] op_sel:[0,0,1] op_sel_hi:[1,1,0] neg_lo:[0,0,1] neg_hi:[0,0,1]
	v_pk_fma_f32 v[128:129], v[14:15], v[10:11], v[12:13] op_sel:[0,0,1] op_sel_hi:[1,0,0]
	ds_read2_b64 v[12:15], v96 offset0:124 offset1:184
	v_mov_b32_e32 v127, v129
	s_waitcnt lgkmcnt(0)
	v_pk_mul_f32 v[10:11], v[14:15], v[8:9] op_sel:[0,1]
	s_nop 0
	v_pk_fma_f32 v[96:97], v[14:15], v[8:9], v[10:11] op_sel:[0,0,1] op_sel_hi:[1,1,0] neg_lo:[0,0,1] neg_hi:[0,0,1]
	v_pk_fma_f32 v[130:131], v[14:15], v[8:9], v[10:11] op_sel:[0,0,1] op_sel_hi:[1,0,0]
	v_mov_b32_e32 v8, v3
	v_pk_mul_f32 v[8:9], v[12:13], v[8:9] op_sel_hi:[1,0]
	v_mov_b32_e32 v97, v131
	v_pk_fma_f32 v[10:11], v[12:13], v[2:3], v[8:9] op_sel:[0,0,1] op_sel_hi:[1,1,0] neg_lo:[0,0,1] neg_hi:[0,0,1]
	v_pk_fma_f32 v[132:133], v[12:13], v[2:3], v[8:9] op_sel:[0,0,1] op_sel_hi:[1,0,0]
	ds_read2_b64 v[12:15], v81 offset0:148 offset1:208
	v_mov_b32_e32 v11, v133
	s_waitcnt lgkmcnt(0)
	v_pk_mul_f32 v[2:3], v[12:13], v[0:1] op_sel:[0,1]
	s_nop 0
	v_pk_fma_f32 v[8:9], v[12:13], v[0:1], v[2:3] op_sel:[0,0,1] op_sel_hi:[1,1,0] neg_lo:[0,0,1] neg_hi:[0,0,1]
	v_pk_fma_f32 v[134:135], v[12:13], v[0:1], v[2:3] op_sel:[0,0,1] op_sel_hi:[1,0,0]
	s_waitcnt vmcnt(0)
	v_pk_mul_f32 v[0:1], v[18:19], v[14:15] op_sel:[0,1]
	v_mov_b32_e32 v9, v135
	v_pk_fma_f32 v[136:137], v[18:19], v[14:15], v[0:1] op_sel:[0,0,1] op_sel_hi:[1,1,0] neg_lo:[0,0,1] neg_hi:[0,0,1]
	v_pk_fma_f32 v[12:13], v[18:19], v[14:15], v[0:1] op_sel:[0,0,1] op_sel_hi:[1,0,0]
	ds_read2_b64 v[0:3], v93 offset0:44 offset1:104
	v_mov_b32_e32 v137, v13
	s_waitcnt lgkmcnt(0)
	v_pk_mul_f32 v[14:15], v[16:17], v[2:3] op_sel:[0,1]
	s_nop 0
	v_pk_fma_f32 v[18:19], v[16:17], v[2:3], v[14:15] op_sel:[0,0,1] op_sel_hi:[1,1,0] neg_lo:[0,0,1] neg_hi:[0,0,1]
	v_pk_fma_f32 v[2:3], v[16:17], v[2:3], v[14:15] op_sel:[0,0,1] op_sel_hi:[1,0,0]
	ds_read2_b64 v[12:15], v92 offset0:188 offset1:248
	v_mov_b32_e32 v19, v3
	v_pk_add_f32 v[36:37], v[18:19], v[96:97]
	s_waitcnt lgkmcnt(0)
	v_pk_mul_f32 v[2:3], v[14:15], v[106:107] op_sel:[0,1]
	s_nop 0
	v_pk_fma_f32 v[38:39], v[14:15], v[106:107], v[2:3] op_sel:[0,0,1] op_sel_hi:[1,1,0] neg_lo:[0,0,1] neg_hi:[0,0,1]
	v_pk_fma_f32 v[2:3], v[14:15], v[106:107], v[2:3] op_sel:[0,0,1] op_sel_hi:[1,0,0]
	ds_read_b64 v[14:15], v90 offset:16800
	v_mov_b32_e32 v39, v3
	v_pk_add_f32 v[36:37], v[36:37], v[124:125]
	s_waitcnt lgkmcnt(0)
	v_pk_mul_f32 v[16:17], v[14:15], v[62:63] op_sel:[0,1]
	s_nop 0
	v_pk_fma_f32 v[2:3], v[14:15], v[62:63], v[16:17] op_sel:[0,0,1] op_sel_hi:[1,1,0] neg_lo:[0,0,1] neg_hi:[0,0,1]
	v_pk_fma_f32 v[50:51], v[14:15], v[62:63], v[16:17] op_sel:[0,0,1] op_sel_hi:[1,0,0]
	ds_read2_b64 v[14:17], v90 offset1:240
	v_mov_b32_e32 v3, v51
	v_pk_add_f32 v[50:51], v[136:137], v[126:127]
	s_waitcnt lgkmcnt(0)
	v_pk_add_f32 v[62:63], v[14:15], v[136:137]
	v_pk_fma_f32 v[14:15], v[50:51], 0.5, v[14:15] op_sel_hi:[1,0,1] neg_lo:[1,0,0] neg_hi:[1,0,0]
	v_pk_add_f32 v[50:51], v[136:137], v[126:127] neg_lo:[0,1] neg_hi:[0,1]
	v_pk_add_f32 v[62:63], v[62:63], v[126:127]
	v_pk_mul_f32 v[50:51], v[50:51], s[2:3] op_sel_hi:[1,0]
	v_pk_add_f32 v[106:107], v[62:63], v[36:37]
	v_pk_add_f32 v[64:65], v[50:51], v[14:15] op_sel:[1,0] op_sel_hi:[0,1]
	v_pk_add_f32 v[14:15], v[14:15], v[50:51] op_sel:[0,1] op_sel_hi:[1,0] neg_lo:[0,1] neg_hi:[0,1]
	v_pk_add_f32 v[50:51], v[96:97], v[124:125]
	v_pk_add_f32 v[36:37], v[62:63], v[36:37] neg_lo:[0,1] neg_hi:[0,1]
	v_pk_fma_f32 v[18:19], v[50:51], 0.5, v[18:19] op_sel_hi:[1,0,1] neg_lo:[1,0,0] neg_hi:[1,0,0]
	v_pk_add_f32 v[50:51], v[96:97], v[124:125] neg_lo:[0,1] neg_hi:[0,1]
	s_nop 0
	v_pk_fma_f32 v[70:71], v[50:51], s[2:3], v[18:19] op_sel:[0,0,1] op_sel_hi:[1,0,0]
	v_pk_fma_f32 v[18:19], v[50:51], s[2:3], v[18:19] op_sel:[0,0,1] op_sel_hi:[1,0,0] neg_lo:[1,0,0] neg_hi:[1,0,0]
	v_pk_mul_f32 v[50:51], v[12:13], v[48:49] op_sel:[0,1]
	v_mul_f32_e32 v20, 0xbf5db3d7, v71
	v_pk_fma_f32 v[96:97], v[12:13], v[48:49], v[50:51] op_sel:[0,0,1] op_sel_hi:[1,1,0] neg_lo:[0,0,1] neg_hi:[0,0,1]
	v_pk_fma_f32 v[12:13], v[12:13], v[48:49], v[50:51] op_sel:[0,0,1] op_sel_hi:[1,0,0]
	v_fmac_f32_e32 v20, 0.5, v18
	v_mul_f32_e32 v12, 0x3f5db3d7, v18
	v_fmac_f32_e32 v12, 0.5, v71
	v_add_f32_e32 v48, v64, v12
	v_add_f32_e32 v49, v15, v20
	v_sub_f32_e32 v50, v64, v12
	v_sub_f32_e32 v51, v15, v20
	v_mov_b32_e32 v64, v14
	v_pk_add_f32 v[14:15], v[16:17], v[54:55]
	v_mov_b32_e32 v18, v70
	v_pk_add_f32 v[108:109], v[14:15], v[32:33]
	v_pk_mul_f32 v[14:15], v[18:19], 0.5 op_sel_hi:[1,0]
	v_mov_b32_e32 v97, v13
	v_pk_fma_f32 v[14:15], v[18:19], s[2:3], v[14:15] op_sel:[0,0,1] op_sel_hi:[1,1,0] neg_lo:[0,0,1] neg_hi:[0,0,1]
	ds_read_b64 v[20:21], v76
	v_pk_add_f32 v[62:63], v[64:65], v[14:15]
	v_pk_add_f32 v[64:65], v[64:65], v[14:15] neg_lo:[0,1] neg_hi:[0,1]
	v_pk_add_f32 v[14:15], v[0:1], v[10:11]
	v_pk_add_f32 v[18:19], v[58:59], v[72:73]
	;; [unrolled: 1-line block ×4, first 2 shown]
	s_waitcnt lgkmcnt(0)
	v_pk_add_f32 v[100:101], v[20:21], v[42:43]
	v_pk_add_f32 v[30:31], v[14:15], v[2:3]
	ds_read2_b64 v[12:15], v92 offset0:68 offset1:128
	v_pk_add_f32 v[100:101], v[100:101], v[24:25]
	v_pk_add_f32 v[18:19], v[18:19], v[38:39]
	;; [unrolled: 1-line block ×4, first 2 shown]
	s_waitcnt lgkmcnt(0)
	v_pk_mul_f32 v[22:23], v[14:15], v[112:113] op_sel:[0,1]
	s_nop 0
	v_pk_fma_f32 v[26:27], v[14:15], v[112:113], v[22:23] op_sel:[0,0,1] op_sel_hi:[1,1,0] neg_lo:[0,0,1] neg_hi:[0,0,1]
	v_pk_fma_f32 v[14:15], v[14:15], v[112:113], v[22:23] op_sel:[0,0,1] op_sel_hi:[1,0,0]
	v_pk_mul_f32 v[22:23], v[12:13], v[60:61] op_sel:[0,1]
	v_mov_b32_e32 v27, v15
	v_pk_fma_f32 v[92:93], v[12:13], v[60:61], v[22:23] op_sel:[0,0,1] op_sel_hi:[1,1,0] neg_lo:[0,0,1] neg_hi:[0,0,1]
	v_pk_fma_f32 v[12:13], v[12:13], v[60:61], v[22:23] op_sel:[0,0,1] op_sel_hi:[1,0,0]
	ds_read_b64 v[22:23], v77
	ds_read_b64 v[60:61], v78
	v_mov_b32_e32 v93, v13
	v_pk_add_f32 v[104:105], v[104:105], v[92:93]
	s_waitcnt lgkmcnt(0)
	; wave barrier
	s_waitcnt lgkmcnt(0)
	v_pk_add_f32 v[12:13], v[60:61], v[44:45]
	ds_write_b64 v90, v[106:107]
	v_pk_add_f32 v[12:13], v[12:13], v[122:123]
	ds_write_b64 v90, v[48:49] offset:2880
	v_pk_add_f32 v[48:49], v[12:13], v[104:105]
	ds_write_b64 v90, v[62:63] offset:5760
	ds_write_b64 v90, v[36:37] offset:8640
	;; [unrolled: 1-line block ×4, first 2 shown]
	ds_write_b64 v78, v[48:49]
	v_pk_add_f32 v[36:37], v[44:45], v[122:123]
	v_pk_add_f32 v[44:45], v[44:45], v[122:123] neg_lo:[0,1] neg_hi:[0,1]
	v_pk_add_f32 v[50:51], v[120:121], v[92:93]
	v_pk_fma_f32 v[36:37], v[36:37], 0.5, v[60:61] op_sel_hi:[1,0,1] neg_lo:[1,0,0] neg_hi:[1,0,0]
	v_pk_mul_f32 v[44:45], v[44:45], s[2:3] op_sel_hi:[1,0]
	v_pk_fma_f32 v[50:51], v[50:51], 0.5, v[68:69] op_sel_hi:[1,0,1] neg_lo:[1,0,0] neg_hi:[1,0,0]
	v_pk_add_f32 v[60:61], v[120:121], v[92:93] neg_lo:[0,1] neg_hi:[0,1]
	v_pk_add_f32 v[48:49], v[44:45], v[36:37] op_sel:[1,0] op_sel_hi:[0,1]
	v_pk_add_f32 v[36:37], v[36:37], v[44:45] op_sel:[0,1] op_sel_hi:[1,0] neg_lo:[0,1] neg_hi:[0,1]
	v_pk_fma_f32 v[62:63], v[60:61], s[2:3], v[50:51] op_sel:[0,0,1] op_sel_hi:[1,0,0]
	v_pk_fma_f32 v[50:51], v[60:61], s[2:3], v[50:51] op_sel:[0,0,1] op_sel_hi:[1,0,0] neg_lo:[1,0,0] neg_hi:[1,0,0]
	v_mov_b32_e32 v44, v36
	v_mov_b32_e32 v45, v49
	;; [unrolled: 1-line block ×4, first 2 shown]
	v_mul_f32_e32 v36, 0x3f5db3d7, v50
	v_mul_f32_e32 v49, 0xbf5db3d7, v63
	v_fmac_f32_e32 v36, 0.5, v63
	v_fmac_f32_e32 v49, 0.5, v50
	v_pk_mul_f32 v[50:51], v[60:61], 0.5 op_sel_hi:[1,0]
	v_pk_add_f32 v[66:67], v[22:23], v[46:47]
	v_add_f32_e32 v62, v48, v36
	v_add_f32_e32 v63, v37, v49
	v_pk_fma_f32 v[50:51], v[60:61], s[2:3], v[50:51] op_sel:[0,0,1] op_sel_hi:[1,1,0] neg_lo:[0,0,1] neg_hi:[0,0,1]
	v_pk_add_f32 v[12:13], v[12:13], v[104:105] neg_lo:[0,1] neg_hi:[0,1]
	v_pk_add_f32 v[66:67], v[66:67], v[118:119]
	v_pk_add_f32 v[98:99], v[98:99], v[26:27]
	;; [unrolled: 1-line block ×3, first 2 shown]
	v_sub_f32_e32 v36, v48, v36
	v_sub_f32_e32 v37, v37, v49
	ds_write_b64 v78, v[62:63] offset:2880
	ds_write_b64 v78, v[60:61] offset:5760
	;; [unrolled: 1-line block ×4, first 2 shown]
	v_pk_add_f32 v[12:13], v[44:45], v[50:51] neg_lo:[0,1] neg_hi:[0,1]
	v_pk_add_f32 v[102:103], v[66:67], v[98:99]
	ds_write_b64 v78, v[12:13] offset:14400
	ds_write_b64 v77, v[102:103]
	v_pk_add_f32 v[12:13], v[46:47], v[118:119]
	v_pk_add_f32 v[44:45], v[116:117], v[26:27]
	v_pk_fma_f32 v[12:13], v[12:13], 0.5, v[22:23] op_sel_hi:[1,0,1] neg_lo:[1,0,0] neg_hi:[1,0,0]
	v_pk_add_f32 v[22:23], v[46:47], v[118:119] neg_lo:[0,1] neg_hi:[0,1]
	v_pk_fma_f32 v[44:45], v[44:45], 0.5, v[94:95] op_sel_hi:[1,0,1] neg_lo:[1,0,0] neg_hi:[1,0,0]
	v_pk_mul_f32 v[22:23], v[22:23], s[2:3] op_sel_hi:[1,0]
	v_pk_add_f32 v[26:27], v[116:117], v[26:27] neg_lo:[0,1] neg_hi:[0,1]
	v_pk_add_f32 v[36:37], v[22:23], v[12:13] op_sel:[1,0] op_sel_hi:[0,1]
	v_pk_add_f32 v[12:13], v[12:13], v[22:23] op_sel:[0,1] op_sel_hi:[1,0] neg_lo:[0,1] neg_hi:[0,1]
	v_pk_fma_f32 v[46:47], v[26:27], s[2:3], v[44:45] op_sel:[0,0,1] op_sel_hi:[1,0,0]
	v_pk_fma_f32 v[26:27], v[26:27], s[2:3], v[44:45] op_sel:[0,0,1] op_sel_hi:[1,0,0] neg_lo:[1,0,0] neg_hi:[1,0,0]
	v_mov_b32_e32 v22, v12
	v_mov_b32_e32 v23, v37
	;; [unrolled: 1-line block ×4, first 2 shown]
	v_mul_f32_e32 v12, 0x3f5db3d7, v26
	v_mul_f32_e32 v37, 0xbf5db3d7, v47
	v_fmac_f32_e32 v12, 0.5, v47
	v_fmac_f32_e32 v37, 0.5, v26
	v_pk_mul_f32 v[26:27], v[44:45], 0.5 op_sel_hi:[1,0]
	v_pk_add_f32 v[14:15], v[34:35], v[28:29]
	v_add_f32_e32 v46, v36, v12
	v_add_f32_e32 v47, v13, v37
	v_pk_fma_f32 v[26:27], v[44:45], s[2:3], v[26:27] op_sel:[0,0,1] op_sel_hi:[1,1,0] neg_lo:[0,0,1] neg_hi:[0,0,1]
	v_sub_f32_e32 v12, v36, v12
	v_sub_f32_e32 v13, v13, v37
	v_pk_add_f32 v[36:37], v[66:67], v[98:99] neg_lo:[0,1] neg_hi:[0,1]
	v_pk_add_f32 v[14:15], v[14:15], v[96:97]
	v_pk_add_f32 v[44:45], v[22:23], v[26:27]
	ds_write_b64 v77, v[46:47] offset:2880
	ds_write_b64 v77, v[44:45] offset:5760
	;; [unrolled: 1-line block ×4, first 2 shown]
	v_pk_add_f32 v[12:13], v[22:23], v[26:27] neg_lo:[0,1] neg_hi:[0,1]
	v_pk_add_f32 v[40:41], v[100:101], v[14:15]
	ds_write_b64 v77, v[12:13] offset:14400
	ds_write_b64 v76, v[40:41]
	v_pk_add_f32 v[12:13], v[42:43], v[24:25]
	v_pk_add_f32 v[26:27], v[28:29], v[96:97] neg_lo:[0,1] neg_hi:[0,1]
	v_pk_fma_f32 v[12:13], v[12:13], 0.5, v[20:21] op_sel_hi:[1,0,1] neg_lo:[1,0,0] neg_hi:[1,0,0]
	v_pk_add_f32 v[20:21], v[42:43], v[24:25] neg_lo:[0,1] neg_hi:[0,1]
	v_pk_add_f32 v[24:25], v[28:29], v[96:97]
	v_pk_mul_f32 v[20:21], v[20:21], s[2:3] op_sel_hi:[1,0]
	v_pk_fma_f32 v[24:25], v[24:25], 0.5, v[34:35] op_sel_hi:[1,0,1] neg_lo:[1,0,0] neg_hi:[1,0,0]
	v_pk_add_f32 v[22:23], v[20:21], v[12:13] op_sel:[1,0] op_sel_hi:[0,1]
	v_pk_add_f32 v[12:13], v[12:13], v[20:21] op_sel:[0,1] op_sel_hi:[1,0] neg_lo:[0,1] neg_hi:[0,1]
	v_pk_fma_f32 v[28:29], v[26:27], s[2:3], v[24:25] op_sel:[0,0,1] op_sel_hi:[1,0,0]
	v_pk_fma_f32 v[24:25], v[26:27], s[2:3], v[24:25] op_sel:[0,0,1] op_sel_hi:[1,0,0] neg_lo:[1,0,0] neg_hi:[1,0,0]
	v_mov_b32_e32 v20, v12
	v_mov_b32_e32 v21, v23
	;; [unrolled: 1-line block ×4, first 2 shown]
	v_mul_f32_e32 v12, 0x3f5db3d7, v24
	v_mul_f32_e32 v23, 0xbf5db3d7, v29
	v_fmac_f32_e32 v12, 0.5, v29
	v_fmac_f32_e32 v23, 0.5, v24
	v_pk_mul_f32 v[24:25], v[26:27], 0.5 op_sel_hi:[1,0]
	v_add_f32_e32 v28, v22, v12
	v_add_f32_e32 v29, v13, v23
	v_pk_fma_f32 v[24:25], v[26:27], s[2:3], v[24:25] op_sel:[0,0,1] op_sel_hi:[1,1,0] neg_lo:[0,0,1] neg_hi:[0,0,1]
	v_sub_f32_e32 v12, v22, v12
	v_sub_f32_e32 v13, v13, v23
	v_pk_add_f32 v[14:15], v[100:101], v[14:15] neg_lo:[0,1] neg_hi:[0,1]
	v_pk_add_f32 v[26:27], v[20:21], v[24:25]
	ds_write_b64 v76, v[28:29] offset:2880
	ds_write_b64 v76, v[26:27] offset:5760
	;; [unrolled: 1-line block ×4, first 2 shown]
	v_pk_add_f32 v[12:13], v[20:21], v[24:25] neg_lo:[0,1] neg_hi:[0,1]
	ds_write_b64 v76, v[12:13] offset:14400
	v_pk_add_f32 v[12:13], v[54:55], v[32:33]
	v_pk_add_f32 v[14:15], v[54:55], v[32:33] neg_lo:[0,1] neg_hi:[0,1]
	v_pk_add_f32 v[20:21], v[72:73], v[38:39]
	v_pk_fma_f32 v[12:13], v[12:13], 0.5, v[16:17] op_sel_hi:[1,0,1] neg_lo:[1,0,0] neg_hi:[1,0,0]
	v_pk_mul_f32 v[14:15], v[14:15], s[2:3] op_sel_hi:[1,0]
	v_pk_fma_f32 v[20:21], v[20:21], 0.5, v[58:59] op_sel_hi:[1,0,1] neg_lo:[1,0,0] neg_hi:[1,0,0]
	v_pk_add_f32 v[22:23], v[72:73], v[38:39] neg_lo:[0,1] neg_hi:[0,1]
	v_pk_add_f32 v[16:17], v[14:15], v[12:13] op_sel:[1,0] op_sel_hi:[0,1]
	v_pk_add_f32 v[12:13], v[12:13], v[14:15] op_sel:[0,1] op_sel_hi:[1,0] neg_lo:[0,1] neg_hi:[0,1]
	v_pk_fma_f32 v[24:25], v[22:23], s[2:3], v[20:21] op_sel:[0,0,1] op_sel_hi:[1,0,0]
	v_pk_fma_f32 v[20:21], v[22:23], s[2:3], v[20:21] op_sel:[0,0,1] op_sel_hi:[1,0,0] neg_lo:[1,0,0] neg_hi:[1,0,0]
	v_mov_b32_e32 v14, v12
	v_mov_b32_e32 v15, v17
	v_mul_f32_e32 v12, 0x3f5db3d7, v20
	v_mul_f32_e32 v17, 0xbf5db3d7, v25
	v_fmac_f32_e32 v12, 0.5, v25
	v_fmac_f32_e32 v17, 0.5, v20
	v_mov_b32_e32 v22, v24
	v_add_f32_e32 v24, v16, v12
	v_add_f32_e32 v25, v13, v17
	v_sub_f32_e32 v12, v16, v12
	v_sub_f32_e32 v13, v13, v17
	v_pk_add_f32 v[16:17], v[108:109], v[18:19] neg_lo:[0,1] neg_hi:[0,1]
	v_pk_add_f32 v[18:19], v[10:11], v[6:7]
	v_pk_add_f32 v[6:7], v[10:11], v[6:7] neg_lo:[0,1] neg_hi:[0,1]
	v_pk_fma_f32 v[0:1], v[18:19], 0.5, v[0:1] op_sel_hi:[1,0,1] neg_lo:[1,0,0] neg_hi:[1,0,0]
	v_pk_add_f32 v[18:19], v[4:5], v[2:3]
	v_pk_mul_f32 v[6:7], v[6:7], s[2:3] op_sel_hi:[1,0]
	v_pk_fma_f32 v[8:9], v[18:19], 0.5, v[8:9] op_sel_hi:[1,0,1] neg_lo:[1,0,0] neg_hi:[1,0,0]
	v_pk_add_f32 v[2:3], v[4:5], v[2:3] neg_lo:[0,1] neg_hi:[0,1]
	v_pk_add_f32 v[10:11], v[6:7], v[0:1] op_sel:[1,0] op_sel_hi:[0,1]
	v_pk_add_f32 v[0:1], v[0:1], v[6:7] op_sel:[0,1] op_sel_hi:[1,0] neg_lo:[0,1] neg_hi:[0,1]
	v_pk_fma_f32 v[4:5], v[2:3], s[2:3], v[8:9] op_sel:[0,0,1] op_sel_hi:[1,0,0]
	v_pk_fma_f32 v[2:3], v[2:3], s[2:3], v[8:9] op_sel:[0,0,1] op_sel_hi:[1,0,0] neg_lo:[1,0,0] neg_hi:[1,0,0]
	v_mov_b32_e32 v23, v21
	v_mov_b32_e32 v6, v0
	;; [unrolled: 1-line block ×5, first 2 shown]
	v_mul_f32_e32 v0, 0x3f5db3d7, v2
	v_mul_f32_e32 v11, 0xbf5db3d7, v5
	v_pk_mul_f32 v[20:21], v[22:23], 0.5 op_sel_hi:[1,0]
	v_fmac_f32_e32 v0, 0.5, v5
	v_fmac_f32_e32 v11, 0.5, v2
	v_pk_mul_f32 v[2:3], v[8:9], 0.5 op_sel_hi:[1,0]
	v_pk_fma_f32 v[20:21], v[22:23], s[2:3], v[20:21] op_sel:[0,0,1] op_sel_hi:[1,1,0] neg_lo:[0,0,1] neg_hi:[0,0,1]
	v_add_f32_e32 v4, v10, v0
	v_add_f32_e32 v5, v1, v11
	v_pk_fma_f32 v[2:3], v[8:9], s[2:3], v[2:3] op_sel:[0,0,1] op_sel_hi:[1,1,0] neg_lo:[0,0,1] neg_hi:[0,0,1]
	v_pk_add_f32 v[22:23], v[14:15], v[20:21]
	ds_write2_b64 v91, v[70:71], v[110:111] offset0:112 offset1:172
	v_pk_add_f32 v[8:9], v[6:7], v[2:3]
	v_sub_f32_e32 v0, v10, v0
	v_sub_f32_e32 v1, v1, v11
	ds_write2_b64 v81, v[24:25], v[4:5] offset0:88 offset1:148
	ds_write2_b64 v83, v[22:23], v[8:9] offset0:192 offset1:252
	v_pk_add_f32 v[4:5], v[52:53], v[30:31] neg_lo:[0,1] neg_hi:[0,1]
	v_pk_add_f32 v[14:15], v[14:15], v[20:21] neg_lo:[0,1] neg_hi:[0,1]
	ds_write2_b64 v89, v[16:17], v[4:5] offset0:40 offset1:100
	ds_write2_b64 v87, v[12:13], v[0:1] offset0:144 offset1:204
	v_pk_add_f32 v[0:1], v[6:7], v[2:3] neg_lo:[0,1] neg_hi:[0,1]
	v_add_u32_e32 v2, 0x3c00, v90
	ds_write2_b64 v2, v[14:15], v[0:1] offset0:120 offset1:180
	s_waitcnt lgkmcnt(0)
	; wave barrier
	s_waitcnt lgkmcnt(0)
	ds_read_b64 v[6:7], v90
	s_add_u32 s2, s4, 0x4330
	v_lshlrev_b32_e32 v0, 3, v80
	s_addc_u32 s3, s5, 0
	v_sub_u32_e32 v8, 0, v0
                                        ; implicit-def: $vgpr4_vgpr5
                                        ; implicit-def: $vgpr3
                                        ; implicit-def: $vgpr0_vgpr1
	s_and_saveexec_b64 s[4:5], vcc
	s_xor_b64 s[4:5], exec, s[4:5]
	s_cbranch_execz .LBB0_17
; %bb.16:
	v_mov_b32_e32 v81, v57
	v_lshl_add_u64 v[0:1], v[80:81], 3, s[2:3]
	global_load_dwordx2 v[0:1], v[0:1], off
	ds_read_b64 v[2:3], v8 offset:17280
	v_mov_b32_e32 v5, 0.5
	v_mov_b32_e32 v10, v5
	s_waitcnt lgkmcnt(0)
	v_pk_add_f32 v[12:13], v[2:3], v[6:7]
	v_pk_add_f32 v[2:3], v[6:7], v[2:3] neg_lo:[0,1] neg_hi:[0,1]
	v_mov_b32_e32 v6, v13
	v_mov_b32_e32 v7, v2
	v_pk_mul_f32 v[6:7], v[6:7], 0.5 op_sel_hi:[1,0]
	s_waitcnt vmcnt(0)
	v_mov_b32_e32 v4, v1
	v_mov_b32_e32 v2, v7
	v_mov_b32_e32 v13, v6
	v_mov_b32_e32 v11, v1
	v_pk_mul_f32 v[2:3], v[4:5], v[2:3]
	v_pk_mul_f32 v[14:15], v[0:1], v[6:7] op_sel_hi:[0,1]
	v_pk_fma_f32 v[4:5], v[12:13], v[10:11], v[2:3]
	v_pk_fma_f32 v[10:11], v[12:13], v[10:11], v[2:3] neg_lo:[0,0,1] neg_hi:[0,0,1]
	v_add_f32_e32 v2, v14, v4
	v_sub_f32_e32 v3, v5, v15
	v_pk_fma_f32 v[4:5], v[0:1], v[6:7], v[10:11] op_sel_hi:[0,1,1] neg_lo:[1,0,0] neg_hi:[1,0,0]
	ds_write_b32 v90, v2
	v_mov_b64_e32 v[0:1], v[80:81]
                                        ; implicit-def: $vgpr6_vgpr7
.LBB0_17:
	s_or_saveexec_b64 s[4:5], s[4:5]
	v_mul_i32_i24_e32 v9, 0xffffffb8, v82
	v_mul_i32_i24_e32 v10, 0xffffffb8, v88
	s_xor_b64 exec, exec, s[4:5]
	s_cbranch_execz .LBB0_19
; %bb.18:
	s_waitcnt lgkmcnt(0)
	v_mov_b32_e32 v0, v7
	v_pk_add_f32 v[2:3], v[6:7], v[0:1] neg_lo:[0,1] neg_hi:[0,1]
	v_add_f32_e32 v5, v7, v6
	v_mov_b32_e32 v3, 0
	ds_read_b32 v4, v3 offset:8644
	v_mov_b64_e32 v[0:1], 0
	ds_write_b32 v90, v5
	s_waitcnt lgkmcnt(1)
	v_xor_b32_e32 v4, 0x80000000, v4
	ds_write_b32 v3, v4 offset:8644
	v_mov_b64_e32 v[4:5], v[2:3]
.LBB0_19:
	s_or_b64 exec, exec, s[4:5]
	v_mov_b32_e32 v83, 0
	s_waitcnt lgkmcnt(0)
	v_lshl_add_u64 v[6:7], v[82:83], 3, s[2:3]
	global_load_dwordx2 v[6:7], v[6:7], off
	v_mov_b32_e32 v89, v83
	v_lshl_add_u64 v[12:13], v[88:89], 3, s[2:3]
	global_load_dwordx2 v[12:13], v[12:13], off
	v_mov_b32_e32 v87, v83
	v_lshl_add_u64 v[14:15], v[86:87], 3, s[2:3]
	global_load_dwordx2 v[14:15], v[14:15], off
	v_lshl_add_u64 v[16:17], v[0:1], 3, s[2:3]
	global_load_dwordx2 v[18:19], v[16:17], off offset:1920
	ds_write_b32 v90, v3 offset:4
	ds_write_b64 v8, v[4:5] offset:17280
	v_add_u32_e32 v9, v74, v9
	ds_read_b64 v[4:5], v9
	ds_read_b64 v[20:21], v8 offset:16800
	v_mov_b32_e32 v3, 0.5
	v_add_u32_e32 v28, v75, v10
	v_mov_b32_e32 v10, v3
	s_movk_i32 s4, 0x1000
	s_waitcnt lgkmcnt(0)
	v_pk_add_f32 v[22:23], v[4:5], v[20:21]
	v_pk_add_f32 v[4:5], v[4:5], v[20:21] neg_lo:[0,1] neg_hi:[0,1]
	v_mov_b32_e32 v20, v23
	v_mov_b32_e32 v21, v4
	v_pk_mul_f32 v[20:21], v[20:21], 0.5 op_sel_hi:[1,0]
	v_or_b32_e32 v82, 0x3c0, v80
	v_mov_b32_e32 v4, v21
	v_mov_b32_e32 v23, v20
	s_waitcnt vmcnt(3)
	v_mov_b32_e32 v2, v7
	v_mov_b32_e32 v11, v7
	v_pk_mul_f32 v[4:5], v[2:3], v[4:5]
	s_waitcnt vmcnt(2)
	v_mov_b32_e32 v2, v13
	v_pk_fma_f32 v[24:25], v[22:23], v[10:11], v[4:5]
	v_pk_fma_f32 v[4:5], v[22:23], v[10:11], v[4:5] neg_lo:[0,0,1] neg_hi:[0,0,1]
	global_load_dwordx2 v[10:11], v[16:17], off offset:2400
	v_pk_fma_f32 v[22:23], v[6:7], v[20:21], v[24:25]
	v_pk_fma_f32 v[24:25], v[6:7], v[20:21], v[24:25] op_sel_hi:[0,1,1] neg_lo:[1,0,0] neg_hi:[1,0,0]
	v_mov_b32_e32 v23, v25
	v_pk_fma_f32 v[4:5], v[6:7], v[20:21], v[4:5] op_sel_hi:[0,1,1] neg_lo:[1,0,0] neg_hi:[1,0,0]
	ds_write_b64 v9, v[22:23]
	ds_write_b64 v8, v[4:5] offset:16800
	ds_read_b64 v[4:5], v28
	ds_read_b64 v[6:7], v8 offset:16320
	global_load_dwordx2 v[22:23], v[16:17], off offset:2880
	v_mov_b32_e32 v20, v3
	v_mov_b32_e32 v21, v13
	s_waitcnt lgkmcnt(0)
	v_pk_add_f32 v[24:25], v[4:5], v[6:7]
	v_pk_add_f32 v[4:5], v[4:5], v[6:7] neg_lo:[0,1] neg_hi:[0,1]
	v_mov_b32_e32 v6, v25
	v_mov_b32_e32 v7, v4
	v_pk_mul_f32 v[6:7], v[6:7], 0.5 op_sel_hi:[1,0]
	s_nop 0
	v_mov_b32_e32 v4, v7
	v_mov_b32_e32 v25, v6
	v_pk_mul_f32 v[4:5], v[2:3], v[4:5]
	s_waitcnt vmcnt(3)
	v_mov_b32_e32 v2, v15
	v_pk_fma_f32 v[26:27], v[24:25], v[20:21], v[4:5]
	v_pk_fma_f32 v[4:5], v[24:25], v[20:21], v[4:5] neg_lo:[0,0,1] neg_hi:[0,0,1]
	v_pk_fma_f32 v[20:21], v[12:13], v[6:7], v[26:27]
	v_pk_fma_f32 v[24:25], v[12:13], v[6:7], v[26:27] op_sel_hi:[0,1,1] neg_lo:[1,0,0] neg_hi:[1,0,0]
	v_mov_b32_e32 v21, v25
	v_pk_fma_f32 v[4:5], v[12:13], v[6:7], v[4:5] op_sel_hi:[0,1,1] neg_lo:[1,0,0] neg_hi:[1,0,0]
	ds_write_b64 v28, v[20:21]
	ds_write_b64 v8, v[4:5] offset:16320
	ds_read_b64 v[4:5], v76
	ds_read_b64 v[6:7], v8 offset:15840
	global_load_dwordx2 v[28:29], v[16:17], off offset:3360
	v_mov_b32_e32 v12, v3
	v_mov_b32_e32 v13, v15
	;; [unrolled: 1-line block ×3, first 2 shown]
	s_waitcnt lgkmcnt(0)
	v_pk_add_f32 v[24:25], v[4:5], v[6:7]
	v_pk_add_f32 v[4:5], v[4:5], v[6:7] neg_lo:[0,1] neg_hi:[0,1]
	v_mov_b32_e32 v6, v25
	v_mov_b32_e32 v7, v4
	v_pk_mul_f32 v[6:7], v[6:7], 0.5 op_sel_hi:[1,0]
	s_waitcnt vmcnt(3)
	v_mov_b32_e32 v21, v19
	v_mov_b32_e32 v4, v7
	;; [unrolled: 1-line block ×3, first 2 shown]
	v_pk_mul_f32 v[4:5], v[2:3], v[4:5]
	v_mov_b32_e32 v2, v19
	v_pk_fma_f32 v[26:27], v[24:25], v[12:13], v[4:5]
	v_pk_fma_f32 v[4:5], v[24:25], v[12:13], v[4:5] neg_lo:[0,0,1] neg_hi:[0,0,1]
	v_pk_fma_f32 v[12:13], v[14:15], v[6:7], v[26:27]
	v_pk_fma_f32 v[24:25], v[14:15], v[6:7], v[26:27] op_sel_hi:[0,1,1] neg_lo:[1,0,0] neg_hi:[1,0,0]
	v_mov_b32_e32 v13, v25
	v_pk_fma_f32 v[4:5], v[14:15], v[6:7], v[4:5] op_sel_hi:[0,1,1] neg_lo:[1,0,0] neg_hi:[1,0,0]
	ds_write_b64 v76, v[12:13]
	ds_write_b64 v8, v[4:5] offset:15840
	ds_read_b64 v[4:5], v90 offset:1920
	ds_read_b64 v[6:7], v8 offset:15360
	global_load_dwordx2 v[14:15], v[16:17], off offset:3840
	v_mov_b32_e32 v12, v3
	s_waitcnt lgkmcnt(0)
	v_pk_add_f32 v[24:25], v[4:5], v[6:7]
	v_pk_add_f32 v[4:5], v[4:5], v[6:7] neg_lo:[0,1] neg_hi:[0,1]
	v_mov_b32_e32 v6, v25
	v_mov_b32_e32 v7, v4
	v_pk_mul_f32 v[6:7], v[6:7], 0.5 op_sel_hi:[1,0]
	s_waitcnt vmcnt(3)
	v_mov_b32_e32 v13, v11
	v_mov_b32_e32 v4, v7
	;; [unrolled: 1-line block ×3, first 2 shown]
	v_pk_mul_f32 v[4:5], v[2:3], v[4:5]
	v_mov_b32_e32 v2, v11
	v_pk_fma_f32 v[26:27], v[24:25], v[20:21], v[4:5]
	v_pk_fma_f32 v[4:5], v[24:25], v[20:21], v[4:5] neg_lo:[0,0,1] neg_hi:[0,0,1]
	v_pk_fma_f32 v[20:21], v[18:19], v[6:7], v[26:27]
	v_pk_fma_f32 v[24:25], v[18:19], v[6:7], v[26:27] op_sel_hi:[0,1,1] neg_lo:[1,0,0] neg_hi:[1,0,0]
	v_mov_b32_e32 v21, v25
	v_pk_fma_f32 v[4:5], v[18:19], v[6:7], v[4:5] op_sel_hi:[0,1,1] neg_lo:[1,0,0] neg_hi:[1,0,0]
	ds_write_b64 v90, v[20:21] offset:1920
	ds_write_b64 v8, v[4:5] offset:15360
	ds_read_b64 v[6:7], v90 offset:2400
	ds_read_b64 v[18:19], v8 offset:14880
	v_add_co_u32_e32 v4, vcc, s4, v16
	s_nop 1
	v_addc_co_u32_e32 v5, vcc, 0, v17, vcc
	s_waitcnt lgkmcnt(0)
	v_pk_add_f32 v[16:17], v[6:7], v[18:19]
	v_pk_add_f32 v[6:7], v[6:7], v[18:19] neg_lo:[0,1] neg_hi:[0,1]
	v_mov_b32_e32 v18, v17
	v_mov_b32_e32 v19, v6
	v_pk_mul_f32 v[18:19], v[18:19], 0.5 op_sel_hi:[1,0]
	s_nop 0
	v_mov_b32_e32 v6, v19
	v_mov_b32_e32 v17, v18
	v_pk_mul_f32 v[6:7], v[2:3], v[6:7]
	s_waitcnt vmcnt(2)
	v_mov_b32_e32 v2, v23
	v_pk_fma_f32 v[20:21], v[16:17], v[12:13], v[6:7]
	v_pk_fma_f32 v[6:7], v[16:17], v[12:13], v[6:7] neg_lo:[0,0,1] neg_hi:[0,0,1]
	v_pk_fma_f32 v[12:13], v[10:11], v[18:19], v[20:21]
	v_pk_fma_f32 v[16:17], v[10:11], v[18:19], v[20:21] op_sel_hi:[0,1,1] neg_lo:[1,0,0] neg_hi:[1,0,0]
	v_mov_b32_e32 v13, v17
	v_pk_fma_f32 v[6:7], v[10:11], v[18:19], v[6:7] op_sel_hi:[0,1,1] neg_lo:[1,0,0] neg_hi:[1,0,0]
	ds_write_b64 v90, v[12:13] offset:2400
	ds_write_b64 v8, v[6:7] offset:14880
	ds_read_b64 v[6:7], v90 offset:2880
	ds_read_b64 v[10:11], v8 offset:14400
	global_load_dwordx2 v[12:13], v[4:5], off offset:224
	v_mov_b32_e32 v16, v3
	v_mov_b32_e32 v17, v23
	s_waitcnt lgkmcnt(0)
	v_pk_add_f32 v[18:19], v[6:7], v[10:11]
	v_pk_add_f32 v[6:7], v[6:7], v[10:11] neg_lo:[0,1] neg_hi:[0,1]
	v_mov_b32_e32 v10, v19
	v_mov_b32_e32 v11, v6
	v_pk_mul_f32 v[10:11], v[10:11], 0.5 op_sel_hi:[1,0]
	s_nop 0
	v_mov_b32_e32 v6, v11
	v_mov_b32_e32 v19, v10
	v_pk_mul_f32 v[6:7], v[2:3], v[6:7]
	s_waitcnt vmcnt(2)
	v_mov_b32_e32 v2, v29
	v_pk_fma_f32 v[20:21], v[18:19], v[16:17], v[6:7]
	v_pk_fma_f32 v[6:7], v[18:19], v[16:17], v[6:7] neg_lo:[0,0,1] neg_hi:[0,0,1]
	v_pk_fma_f32 v[16:17], v[22:23], v[10:11], v[20:21]
	v_pk_fma_f32 v[18:19], v[22:23], v[10:11], v[20:21] op_sel_hi:[0,1,1] neg_lo:[1,0,0] neg_hi:[1,0,0]
	v_mov_b32_e32 v17, v19
	v_pk_fma_f32 v[6:7], v[22:23], v[10:11], v[6:7] op_sel_hi:[0,1,1] neg_lo:[1,0,0] neg_hi:[1,0,0]
	ds_write_b64 v90, v[16:17] offset:2880
	ds_write_b64 v8, v[6:7] offset:14400
	ds_read_b64 v[6:7], v90 offset:3360
	ds_read_b64 v[10:11], v8 offset:13920
	global_load_dwordx2 v[18:19], v[4:5], off offset:704
	v_mov_b32_e32 v16, v3
	v_mov_b32_e32 v17, v29
	;; [unrolled: 25-line block ×3, first 2 shown]
	s_waitcnt lgkmcnt(0)
	v_pk_add_f32 v[16:17], v[6:7], v[10:11]
	v_pk_add_f32 v[6:7], v[6:7], v[10:11] neg_lo:[0,1] neg_hi:[0,1]
	v_mov_b32_e32 v10, v17
	v_mov_b32_e32 v11, v6
	v_pk_mul_f32 v[10:11], v[10:11], 0.5 op_sel_hi:[1,0]
	s_nop 0
	v_mov_b32_e32 v6, v11
	v_pk_mul_f32 v[6:7], v[2:3], v[6:7]
	v_mov_b32_e32 v17, v10
	v_pk_fma_f32 v[24:25], v[16:17], v[22:23], v[6:7]
	v_pk_fma_f32 v[6:7], v[16:17], v[22:23], v[6:7] neg_lo:[0,0,1] neg_hi:[0,0,1]
	v_pk_fma_f32 v[26:27], v[14:15], v[10:11], v[24:25]
	v_pk_fma_f32 v[24:25], v[14:15], v[10:11], v[24:25] op_sel_hi:[0,1,1] neg_lo:[1,0,0] neg_hi:[1,0,0]
	v_mov_b32_e32 v27, v25
	v_pk_fma_f32 v[6:7], v[14:15], v[10:11], v[6:7] op_sel_hi:[0,1,1] neg_lo:[1,0,0] neg_hi:[1,0,0]
	ds_write_b64 v90, v[26:27] offset:3840
	ds_write_b64 v8, v[6:7] offset:13440
	ds_read_b64 v[6:7], v90 offset:4320
	ds_read_b64 v[10:11], v8 offset:12960
	global_load_dwordx2 v[16:17], v[4:5], off offset:1664
	s_waitcnt lgkmcnt(0)
	v_pk_add_f32 v[14:15], v[6:7], v[10:11]
	v_pk_add_f32 v[6:7], v[6:7], v[10:11] neg_lo:[0,1] neg_hi:[0,1]
	v_mov_b32_e32 v10, v15
	v_mov_b32_e32 v11, v6
	v_pk_mul_f32 v[10:11], v[10:11], 0.5 op_sel_hi:[1,0]
	s_waitcnt vmcnt(3)
	v_mov_b32_e32 v2, v13
	v_mov_b32_e32 v6, v11
	v_pk_mul_f32 v[6:7], v[2:3], v[6:7]
	v_mov_b32_e32 v15, v10
	v_mov_b32_e32 v23, v13
	v_pk_fma_f32 v[24:25], v[14:15], v[22:23], v[6:7]
	v_pk_fma_f32 v[6:7], v[14:15], v[22:23], v[6:7] neg_lo:[0,0,1] neg_hi:[0,0,1]
	v_pk_fma_f32 v[26:27], v[12:13], v[10:11], v[24:25]
	v_pk_fma_f32 v[24:25], v[12:13], v[10:11], v[24:25] op_sel_hi:[0,1,1] neg_lo:[1,0,0] neg_hi:[1,0,0]
	v_mov_b32_e32 v27, v25
	v_pk_fma_f32 v[6:7], v[12:13], v[10:11], v[6:7] op_sel_hi:[0,1,1] neg_lo:[1,0,0] neg_hi:[1,0,0]
	ds_write_b64 v90, v[26:27] offset:4320
	ds_write_b64 v8, v[6:7] offset:12960
	ds_read_b64 v[6:7], v90 offset:4800
	ds_read_b64 v[10:11], v8 offset:12480
	global_load_dwordx2 v[14:15], v[4:5], off offset:2144
	s_waitcnt lgkmcnt(0)
	v_pk_add_f32 v[12:13], v[6:7], v[10:11]
	v_pk_add_f32 v[6:7], v[6:7], v[10:11] neg_lo:[0,1] neg_hi:[0,1]
	v_mov_b32_e32 v10, v13
	v_mov_b32_e32 v11, v6
	v_pk_mul_f32 v[10:11], v[10:11], 0.5 op_sel_hi:[1,0]
	s_waitcnt vmcnt(3)
	v_mov_b32_e32 v2, v19
	v_mov_b32_e32 v6, v11
	v_pk_mul_f32 v[6:7], v[2:3], v[6:7]
	v_mov_b32_e32 v13, v10
	;; [unrolled: 23-line block ×4, first 2 shown]
	v_mov_b32_e32 v23, v17
	v_pk_fma_f32 v[24:25], v[12:13], v[22:23], v[6:7]
	v_pk_fma_f32 v[6:7], v[12:13], v[22:23], v[6:7] neg_lo:[0,0,1] neg_hi:[0,0,1]
	v_pk_fma_f32 v[26:27], v[16:17], v[10:11], v[24:25]
	v_pk_fma_f32 v[24:25], v[16:17], v[10:11], v[24:25] op_sel_hi:[0,1,1] neg_lo:[1,0,0] neg_hi:[1,0,0]
	v_mov_b32_e32 v27, v25
	v_pk_fma_f32 v[6:7], v[16:17], v[10:11], v[6:7] op_sel_hi:[0,1,1] neg_lo:[1,0,0] neg_hi:[1,0,0]
	ds_write_b64 v90, v[26:27] offset:5760
	ds_write_b64 v8, v[6:7] offset:11520
	ds_read_b64 v[6:7], v90 offset:6240
	ds_read_b64 v[10:11], v8 offset:11040
	s_waitcnt lgkmcnt(0)
	v_pk_add_f32 v[12:13], v[6:7], v[10:11]
	v_pk_add_f32 v[6:7], v[6:7], v[10:11] neg_lo:[0,1] neg_hi:[0,1]
	v_lshl_add_u64 v[10:11], v[82:83], 3, s[2:3]
	global_load_dwordx2 v[10:11], v[10:11], off
	v_mov_b32_e32 v16, v13
	v_mov_b32_e32 v17, v6
	v_pk_mul_f32 v[16:17], v[16:17], 0.5 op_sel_hi:[1,0]
	s_waitcnt vmcnt(3)
	v_mov_b32_e32 v2, v15
	v_mov_b32_e32 v6, v17
	v_pk_mul_f32 v[6:7], v[2:3], v[6:7]
	v_mov_b32_e32 v13, v16
	v_mov_b32_e32 v23, v15
	v_pk_fma_f32 v[24:25], v[12:13], v[22:23], v[6:7]
	v_pk_fma_f32 v[6:7], v[12:13], v[22:23], v[6:7] neg_lo:[0,0,1] neg_hi:[0,0,1]
	v_pk_fma_f32 v[26:27], v[14:15], v[16:17], v[24:25]
	v_pk_fma_f32 v[24:25], v[14:15], v[16:17], v[24:25] op_sel_hi:[0,1,1] neg_lo:[1,0,0] neg_hi:[1,0,0]
	v_mov_b32_e32 v27, v25
	v_pk_fma_f32 v[6:7], v[14:15], v[16:17], v[6:7] op_sel_hi:[0,1,1] neg_lo:[1,0,0] neg_hi:[1,0,0]
	ds_write_b64 v90, v[26:27] offset:6240
	ds_write_b64 v8, v[6:7] offset:11040
	ds_read_b64 v[6:7], v90 offset:6720
	ds_read_b64 v[12:13], v8 offset:10560
	global_load_dwordx2 v[4:5], v[4:5], off offset:4064
	v_mov_b32_e32 v16, v3
	s_waitcnt lgkmcnt(0)
	v_pk_add_f32 v[14:15], v[6:7], v[12:13]
	v_pk_add_f32 v[6:7], v[6:7], v[12:13] neg_lo:[0,1] neg_hi:[0,1]
	v_mov_b32_e32 v12, v15
	v_mov_b32_e32 v13, v6
	v_pk_mul_f32 v[12:13], v[12:13], 0.5 op_sel_hi:[1,0]
	s_waitcnt vmcnt(3)
	v_mov_b32_e32 v2, v19
	v_mov_b32_e32 v6, v13
	v_pk_mul_f32 v[6:7], v[2:3], v[6:7]
	v_mov_b32_e32 v15, v12
	v_mov_b32_e32 v17, v19
	v_pk_fma_f32 v[22:23], v[14:15], v[16:17], v[6:7]
	v_pk_fma_f32 v[6:7], v[14:15], v[16:17], v[6:7] neg_lo:[0,0,1] neg_hi:[0,0,1]
	v_pk_fma_f32 v[24:25], v[18:19], v[12:13], v[22:23]
	v_pk_fma_f32 v[22:23], v[18:19], v[12:13], v[22:23] op_sel_hi:[0,1,1] neg_lo:[1,0,0] neg_hi:[1,0,0]
	v_mov_b32_e32 v25, v23
	v_pk_fma_f32 v[6:7], v[18:19], v[12:13], v[6:7] op_sel_hi:[0,1,1] neg_lo:[1,0,0] neg_hi:[1,0,0]
	ds_write_b64 v90, v[24:25] offset:6720
	ds_write_b64 v8, v[6:7] offset:10560
	ds_read_b64 v[6:7], v90 offset:7200
	ds_read_b64 v[12:13], v8 offset:10080
	s_waitcnt lgkmcnt(0)
	v_pk_add_f32 v[14:15], v[6:7], v[12:13]
	v_pk_add_f32 v[6:7], v[6:7], v[12:13] neg_lo:[0,1] neg_hi:[0,1]
	v_mov_b32_e32 v12, v15
	v_mov_b32_e32 v13, v6
	v_pk_mul_f32 v[12:13], v[12:13], 0.5 op_sel_hi:[1,0]
	s_waitcnt vmcnt(2)
	v_mov_b32_e32 v2, v21
	v_mov_b32_e32 v6, v13
	v_pk_mul_f32 v[6:7], v[2:3], v[6:7]
	v_mov_b32_e32 v15, v12
	v_mov_b32_e32 v17, v21
	v_pk_fma_f32 v[18:19], v[14:15], v[16:17], v[6:7]
	v_pk_fma_f32 v[6:7], v[14:15], v[16:17], v[6:7] neg_lo:[0,0,1] neg_hi:[0,0,1]
	v_pk_fma_f32 v[22:23], v[20:21], v[12:13], v[18:19]
	v_pk_fma_f32 v[18:19], v[20:21], v[12:13], v[18:19] op_sel_hi:[0,1,1] neg_lo:[1,0,0] neg_hi:[1,0,0]
	v_mov_b32_e32 v23, v19
	v_pk_fma_f32 v[6:7], v[20:21], v[12:13], v[6:7] op_sel_hi:[0,1,1] neg_lo:[1,0,0] neg_hi:[1,0,0]
	ds_write_b64 v90, v[22:23] offset:7200
	ds_write_b64 v8, v[6:7] offset:10080
	ds_read_b64 v[6:7], v90 offset:7680
	ds_read_b64 v[12:13], v8 offset:9600
	s_waitcnt lgkmcnt(0)
	v_pk_add_f32 v[14:15], v[6:7], v[12:13]
	v_pk_add_f32 v[6:7], v[6:7], v[12:13] neg_lo:[0,1] neg_hi:[0,1]
	v_mov_b32_e32 v12, v15
	v_mov_b32_e32 v13, v6
	v_pk_mul_f32 v[12:13], v[12:13], 0.5 op_sel_hi:[1,0]
	s_waitcnt vmcnt(1)
	v_mov_b32_e32 v2, v11
	v_mov_b32_e32 v6, v13
	v_pk_mul_f32 v[6:7], v[2:3], v[6:7]
	v_mov_b32_e32 v15, v12
	v_mov_b32_e32 v17, v11
	v_pk_fma_f32 v[18:19], v[14:15], v[16:17], v[6:7]
	v_pk_fma_f32 v[6:7], v[14:15], v[16:17], v[6:7] neg_lo:[0,0,1] neg_hi:[0,0,1]
	v_pk_fma_f32 v[20:21], v[10:11], v[12:13], v[18:19]
	v_pk_fma_f32 v[18:19], v[10:11], v[12:13], v[18:19] op_sel_hi:[0,1,1] neg_lo:[1,0,0] neg_hi:[1,0,0]
	v_mov_b32_e32 v21, v19
	v_pk_fma_f32 v[6:7], v[10:11], v[12:13], v[6:7] op_sel_hi:[0,1,1] neg_lo:[1,0,0] neg_hi:[1,0,0]
	ds_write_b64 v90, v[20:21] offset:7680
	ds_write_b64 v8, v[6:7] offset:9600
	ds_read_b64 v[6:7], v90 offset:8160
	ds_read_b64 v[10:11], v8 offset:9120
	s_waitcnt lgkmcnt(0)
	v_pk_add_f32 v[12:13], v[6:7], v[10:11]
	v_pk_add_f32 v[6:7], v[6:7], v[10:11] neg_lo:[0,1] neg_hi:[0,1]
	v_mov_b32_e32 v10, v13
	v_mov_b32_e32 v11, v6
	v_pk_mul_f32 v[10:11], v[10:11], 0.5 op_sel_hi:[1,0]
	s_waitcnt vmcnt(0)
	v_mov_b32_e32 v2, v5
	v_mov_b32_e32 v6, v11
	v_pk_mul_f32 v[6:7], v[2:3], v[6:7]
	v_mov_b32_e32 v13, v10
	v_mov_b32_e32 v2, v3
	v_mov_b32_e32 v3, v5
	v_pk_fma_f32 v[14:15], v[12:13], v[2:3], v[6:7]
	v_pk_fma_f32 v[2:3], v[12:13], v[2:3], v[6:7] neg_lo:[0,0,1] neg_hi:[0,0,1]
	v_pk_fma_f32 v[16:17], v[4:5], v[10:11], v[14:15]
	v_pk_fma_f32 v[14:15], v[4:5], v[10:11], v[14:15] op_sel_hi:[0,1,1] neg_lo:[1,0,0] neg_hi:[1,0,0]
	v_mov_b32_e32 v17, v15
	v_pk_fma_f32 v[2:3], v[4:5], v[10:11], v[2:3] op_sel_hi:[0,1,1] neg_lo:[1,0,0] neg_hi:[1,0,0]
	ds_write_b64 v90, v[16:17] offset:8160
	ds_write_b64 v8, v[2:3] offset:9120
	s_waitcnt lgkmcnt(0)
	; wave barrier
	s_waitcnt lgkmcnt(0)
	s_and_saveexec_b64 s[2:3], s[0:1]
	s_cbranch_execz .LBB0_22
; %bb.20:
	ds_read2_b64 v[2:5], v90 offset1:60
	ds_read2_b64 v[6:9], v90 offset0:120 offset1:180
	v_lshl_add_u64 v[12:13], v[0:1], 3, v[84:85]
	v_add_u32_e32 v0, 0x400, v90
	v_add_co_u32_e32 v14, vcc, s4, v12
	s_waitcnt lgkmcnt(1)
	global_store_dwordx2 v[12:13], v[2:3], off
	global_store_dwordx2 v[12:13], v[4:5], off offset:480
	s_waitcnt lgkmcnt(0)
	global_store_dwordx2 v[12:13], v[6:7], off offset:960
	global_store_dwordx2 v[12:13], v[8:9], off offset:1440
	ds_read2_b64 v[0:3], v0 offset0:112 offset1:172
	v_add_u32_e32 v4, 0x800, v90
	ds_read2_b64 v[4:7], v4 offset0:104 offset1:164
	v_add_u32_e32 v8, 0xc00, v90
	ds_read2_b64 v[8:11], v8 offset0:96 offset1:156
	s_waitcnt lgkmcnt(2)
	global_store_dwordx2 v[12:13], v[0:1], off offset:1920
	global_store_dwordx2 v[12:13], v[2:3], off offset:2400
	s_waitcnt lgkmcnt(1)
	global_store_dwordx2 v[12:13], v[4:5], off offset:2880
	global_store_dwordx2 v[12:13], v[6:7], off offset:3360
	s_waitcnt lgkmcnt(0)
	global_store_dwordx2 v[12:13], v[8:9], off offset:3840
	v_add_u32_e32 v0, 0x1000, v90
	ds_read2_b64 v[0:3], v0 offset0:88 offset1:148
	v_add_u32_e32 v4, 0x1400, v90
	ds_read2_b64 v[4:7], v4 offset0:80 offset1:140
	v_addc_co_u32_e32 v15, vcc, 0, v13, vcc
	s_waitcnt lgkmcnt(1)
	global_store_dwordx2 v[14:15], v[0:1], off offset:704
	v_add_u32_e32 v0, 0x1800, v90
	global_store_dwordx2 v[14:15], v[10:11], off offset:224
	ds_read2_b64 v[8:11], v0 offset0:72 offset1:132
	global_store_dwordx2 v[14:15], v[2:3], off offset:1184
	s_waitcnt lgkmcnt(1)
	global_store_dwordx2 v[14:15], v[4:5], off offset:1664
	ds_read2_b64 v[0:3], v0 offset0:192 offset1:252
	v_lshl_add_u64 v[4:5], v[82:83], 3, v[84:85]
	global_store_dwordx2 v[14:15], v[6:7], off offset:2144
	s_waitcnt lgkmcnt(1)
	global_store_dwordx2 v[14:15], v[8:9], off offset:2624
	global_store_dwordx2 v[14:15], v[10:11], off offset:3104
	s_waitcnt lgkmcnt(0)
	global_store_dwordx2 v[4:5], v[0:1], off
	global_store_dwordx2 v[14:15], v[2:3], off offset:4064
	v_add_u32_e32 v4, 0x2000, v90
	ds_read2_b64 v[0:3], v4 offset0:56 offset1:116
	s_movk_i32 s0, 0x2000
	v_add_co_u32_e32 v14, vcc, s0, v12
	ds_read2_b64 v[4:7], v4 offset0:176 offset1:236
	s_nop 0
	v_addc_co_u32_e32 v15, vcc, 0, v13, vcc
	s_waitcnt lgkmcnt(1)
	global_store_dwordx2 v[14:15], v[0:1], off offset:448
	v_add_u32_e32 v0, 0x2800, v90
	ds_read2_b64 v[8:11], v0 offset0:40 offset1:100
	global_store_dwordx2 v[14:15], v[2:3], off offset:928
	ds_read2_b64 v[0:3], v0 offset0:160 offset1:220
	s_waitcnt lgkmcnt(2)
	global_store_dwordx2 v[14:15], v[4:5], off offset:1408
	global_store_dwordx2 v[14:15], v[6:7], off offset:1888
	s_waitcnt lgkmcnt(1)
	global_store_dwordx2 v[14:15], v[8:9], off offset:2368
	global_store_dwordx2 v[14:15], v[10:11], off offset:2848
	;; [unrolled: 3-line block ×3, first 2 shown]
	v_add_u32_e32 v4, 0x3000, v90
	ds_read2_b64 v[0:3], v4 offset0:24 offset1:84
	s_movk_i32 s0, 0x3000
	ds_read2_b64 v[4:7], v4 offset0:144 offset1:204
	v_add_co_u32_e32 v14, vcc, s0, v12
	v_add_u32_e32 v16, 0x3800, v90
	s_nop 0
	v_addc_co_u32_e32 v15, vcc, 0, v13, vcc
	ds_read2_b64 v[8:11], v16 offset0:8 offset1:68
	s_waitcnt lgkmcnt(2)
	global_store_dwordx2 v[14:15], v[0:1], off offset:192
	global_store_dwordx2 v[14:15], v[2:3], off offset:672
	s_waitcnt lgkmcnt(1)
	global_store_dwordx2 v[14:15], v[4:5], off offset:1152
	global_store_dwordx2 v[14:15], v[6:7], off offset:1632
	;; [unrolled: 3-line block ×3, first 2 shown]
	ds_read2_b64 v[0:3], v16 offset0:128 offset1:188
	v_add_u32_e32 v4, 0x3c00, v90
	ds_read2_b64 v[4:7], v4 offset0:120 offset1:180
	v_or_b32_e32 v82, 0x780, v80
	v_lshl_add_u64 v[8:9], v[82:83], 3, v[84:85]
	s_waitcnt lgkmcnt(1)
	global_store_dwordx2 v[8:9], v[0:1], off
	global_store_dwordx2 v[14:15], v[2:3], off offset:3552
	s_waitcnt lgkmcnt(0)
	global_store_dwordx2 v[14:15], v[4:5], off offset:4032
	v_add_co_u32_e32 v0, vcc, 0x4000, v12
	s_nop 1
	v_addc_co_u32_e32 v1, vcc, 0, v13, vcc
	v_cmp_eq_u32_e32 vcc, 59, v80
	global_store_dwordx2 v[0:1], v[6:7], off offset:416
	s_and_b64 exec, exec, vcc
	s_cbranch_execz .LBB0_22
; %bb.21:
	v_mov_b32_e32 v0, 0
	ds_read_b64 v[0:1], v0 offset:17280
	v_add_co_u32_e32 v2, vcc, 0x4000, v84
	s_nop 1
	v_addc_co_u32_e32 v3, vcc, 0, v85, vcc
	s_waitcnt lgkmcnt(0)
	global_store_dwordx2 v[2:3], v[0:1], off offset:896
.LBB0_22:
	s_endpgm
	.section	.rodata,"a",@progbits
	.p2align	6, 0x0
	.amdhsa_kernel fft_rtc_fwd_len2160_factors_10_6_6_6_wgs_60_tpt_60_halfLds_sp_ip_CI_unitstride_sbrr_R2C_dirReg
		.amdhsa_group_segment_fixed_size 0
		.amdhsa_private_segment_fixed_size 0
		.amdhsa_kernarg_size 88
		.amdhsa_user_sgpr_count 2
		.amdhsa_user_sgpr_dispatch_ptr 0
		.amdhsa_user_sgpr_queue_ptr 0
		.amdhsa_user_sgpr_kernarg_segment_ptr 1
		.amdhsa_user_sgpr_dispatch_id 0
		.amdhsa_user_sgpr_kernarg_preload_length 0
		.amdhsa_user_sgpr_kernarg_preload_offset 0
		.amdhsa_user_sgpr_private_segment_size 0
		.amdhsa_uses_dynamic_stack 0
		.amdhsa_enable_private_segment 0
		.amdhsa_system_sgpr_workgroup_id_x 1
		.amdhsa_system_sgpr_workgroup_id_y 0
		.amdhsa_system_sgpr_workgroup_id_z 0
		.amdhsa_system_sgpr_workgroup_info 0
		.amdhsa_system_vgpr_workitem_id 0
		.amdhsa_next_free_vgpr 160
		.amdhsa_next_free_sgpr 22
		.amdhsa_accum_offset 160
		.amdhsa_reserve_vcc 1
		.amdhsa_float_round_mode_32 0
		.amdhsa_float_round_mode_16_64 0
		.amdhsa_float_denorm_mode_32 3
		.amdhsa_float_denorm_mode_16_64 3
		.amdhsa_dx10_clamp 1
		.amdhsa_ieee_mode 1
		.amdhsa_fp16_overflow 0
		.amdhsa_tg_split 0
		.amdhsa_exception_fp_ieee_invalid_op 0
		.amdhsa_exception_fp_denorm_src 0
		.amdhsa_exception_fp_ieee_div_zero 0
		.amdhsa_exception_fp_ieee_overflow 0
		.amdhsa_exception_fp_ieee_underflow 0
		.amdhsa_exception_fp_ieee_inexact 0
		.amdhsa_exception_int_div_zero 0
	.end_amdhsa_kernel
	.text
.Lfunc_end0:
	.size	fft_rtc_fwd_len2160_factors_10_6_6_6_wgs_60_tpt_60_halfLds_sp_ip_CI_unitstride_sbrr_R2C_dirReg, .Lfunc_end0-fft_rtc_fwd_len2160_factors_10_6_6_6_wgs_60_tpt_60_halfLds_sp_ip_CI_unitstride_sbrr_R2C_dirReg
                                        ; -- End function
	.section	.AMDGPU.csdata,"",@progbits
; Kernel info:
; codeLenInByte = 18504
; NumSgprs: 28
; NumVgprs: 160
; NumAgprs: 0
; TotalNumVgprs: 160
; ScratchSize: 0
; MemoryBound: 0
; FloatMode: 240
; IeeeMode: 1
; LDSByteSize: 0 bytes/workgroup (compile time only)
; SGPRBlocks: 3
; VGPRBlocks: 19
; NumSGPRsForWavesPerEU: 28
; NumVGPRsForWavesPerEU: 160
; AccumOffset: 160
; Occupancy: 3
; WaveLimiterHint : 1
; COMPUTE_PGM_RSRC2:SCRATCH_EN: 0
; COMPUTE_PGM_RSRC2:USER_SGPR: 2
; COMPUTE_PGM_RSRC2:TRAP_HANDLER: 0
; COMPUTE_PGM_RSRC2:TGID_X_EN: 1
; COMPUTE_PGM_RSRC2:TGID_Y_EN: 0
; COMPUTE_PGM_RSRC2:TGID_Z_EN: 0
; COMPUTE_PGM_RSRC2:TIDIG_COMP_CNT: 0
; COMPUTE_PGM_RSRC3_GFX90A:ACCUM_OFFSET: 39
; COMPUTE_PGM_RSRC3_GFX90A:TG_SPLIT: 0
	.text
	.p2alignl 6, 3212836864
	.fill 256, 4, 3212836864
	.type	__hip_cuid_15a117f47ba6464a,@object ; @__hip_cuid_15a117f47ba6464a
	.section	.bss,"aw",@nobits
	.globl	__hip_cuid_15a117f47ba6464a
__hip_cuid_15a117f47ba6464a:
	.byte	0                               ; 0x0
	.size	__hip_cuid_15a117f47ba6464a, 1

	.ident	"AMD clang version 19.0.0git (https://github.com/RadeonOpenCompute/llvm-project roc-6.4.0 25133 c7fe45cf4b819c5991fe208aaa96edf142730f1d)"
	.section	".note.GNU-stack","",@progbits
	.addrsig
	.addrsig_sym __hip_cuid_15a117f47ba6464a
	.amdgpu_metadata
---
amdhsa.kernels:
  - .agpr_count:     0
    .args:
      - .actual_access:  read_only
        .address_space:  global
        .offset:         0
        .size:           8
        .value_kind:     global_buffer
      - .offset:         8
        .size:           8
        .value_kind:     by_value
      - .actual_access:  read_only
        .address_space:  global
        .offset:         16
        .size:           8
        .value_kind:     global_buffer
      - .actual_access:  read_only
        .address_space:  global
        .offset:         24
        .size:           8
        .value_kind:     global_buffer
      - .offset:         32
        .size:           8
        .value_kind:     by_value
      - .actual_access:  read_only
        .address_space:  global
        .offset:         40
        .size:           8
        .value_kind:     global_buffer
      - .actual_access:  read_only
        .address_space:  global
        .offset:         48
        .size:           8
        .value_kind:     global_buffer
      - .offset:         56
        .size:           4
        .value_kind:     by_value
      - .actual_access:  read_only
        .address_space:  global
        .offset:         64
        .size:           8
        .value_kind:     global_buffer
      - .actual_access:  read_only
        .address_space:  global
        .offset:         72
        .size:           8
        .value_kind:     global_buffer
      - .address_space:  global
        .offset:         80
        .size:           8
        .value_kind:     global_buffer
    .group_segment_fixed_size: 0
    .kernarg_segment_align: 8
    .kernarg_segment_size: 88
    .language:       OpenCL C
    .language_version:
      - 2
      - 0
    .max_flat_workgroup_size: 60
    .name:           fft_rtc_fwd_len2160_factors_10_6_6_6_wgs_60_tpt_60_halfLds_sp_ip_CI_unitstride_sbrr_R2C_dirReg
    .private_segment_fixed_size: 0
    .sgpr_count:     28
    .sgpr_spill_count: 0
    .symbol:         fft_rtc_fwd_len2160_factors_10_6_6_6_wgs_60_tpt_60_halfLds_sp_ip_CI_unitstride_sbrr_R2C_dirReg.kd
    .uniform_work_group_size: 1
    .uses_dynamic_stack: false
    .vgpr_count:     160
    .vgpr_spill_count: 0
    .wavefront_size: 64
amdhsa.target:   amdgcn-amd-amdhsa--gfx950
amdhsa.version:
  - 1
  - 2
...

	.end_amdgpu_metadata
